;; amdgpu-corpus repo=ROCm/rocBLAS kind=compiled arch=gfx1100 opt=O3
	.text
	.amdgcn_target "amdgcn-amd-amdhsa--gfx1100"
	.amdhsa_code_object_version 6
	.section	.text._ZL19rocblas_hpmv_kernelILi64ELi16EPK19rocblas_complex_numIfES3_PS1_EvbiT1_T2_llS6_lllS5_T3_llli,"axG",@progbits,_ZL19rocblas_hpmv_kernelILi64ELi16EPK19rocblas_complex_numIfES3_PS1_EvbiT1_T2_llS6_lllS5_T3_llli,comdat
	.globl	_ZL19rocblas_hpmv_kernelILi64ELi16EPK19rocblas_complex_numIfES3_PS1_EvbiT1_T2_llS6_lllS5_T3_llli ; -- Begin function _ZL19rocblas_hpmv_kernelILi64ELi16EPK19rocblas_complex_numIfES3_PS1_EvbiT1_T2_llS6_lllS5_T3_llli
	.p2align	8
	.type	_ZL19rocblas_hpmv_kernelILi64ELi16EPK19rocblas_complex_numIfES3_PS1_EvbiT1_T2_llS6_lllS5_T3_llli,@function
_ZL19rocblas_hpmv_kernelILi64ELi16EPK19rocblas_complex_numIfES3_PS1_EvbiT1_T2_llS6_lllS5_T3_llli: ; @_ZL19rocblas_hpmv_kernelILi64ELi16EPK19rocblas_complex_numIfES3_PS1_EvbiT1_T2_llS6_lllS5_T3_llli
; %bb.0:
	s_clause 0x1
	s_load_b512 s[16:31], s[0:1], 0x8
	s_load_b256 s[4:11], s[0:1], 0x48
	s_waitcnt lgkmcnt(0)
	s_load_b64 s[12:13], s[16:17], 0x0
	s_load_b64 s[4:5], s[4:5], 0x0
	s_waitcnt lgkmcnt(0)
	v_cmp_neq_f32_e64 s2, s12, 0
	v_cmp_neq_f32_e64 s3, s13, 0
	s_delay_alu instid0(VALU_DEP_1) | instskip(NEXT) | instid1(SALU_CYCLE_1)
	s_or_b32 s2, s2, s3
	s_and_b32 vcc_lo, exec_lo, s2
	s_mov_b32 s2, -1
	s_cbranch_vccnz .LBB0_2
; %bb.1:
	v_cmp_neq_f32_e64 s2, s4, 1.0
	v_cmp_neq_f32_e64 s3, s5, 0
	s_delay_alu instid0(VALU_DEP_1)
	s_or_b32 s2, s2, s3
.LBB0_2:
	s_delay_alu instid0(SALU_CYCLE_1)
	s_and_not1_b32 vcc_lo, exec_lo, s2
	s_cbranch_vccnz .LBB0_24
; %bb.3:
	s_clause 0x1
	s_load_b64 s[2:3], s[0:1], 0x68
	s_load_b64 s[16:17], s[0:1], 0x0
	v_and_b32_e32 v6, 0x3ff, v0
	v_bfe_u32 v0, v0, 10, 10
	s_delay_alu instid0(VALU_DEP_2) | instskip(NEXT) | instid1(VALU_DEP_2)
	v_and_b32_e32 v9, 63, v6
	v_lshl_add_u32 v7, v0, 6, v6
	s_waitcnt lgkmcnt(0)
	s_mul_i32 s1, s15, s3
	s_mul_hi_u32 s3, s15, s2
	s_mul_i32 s0, s15, s2
	s_add_i32 s1, s3, s1
	s_delay_alu instid0(SALU_CYCLE_1) | instskip(NEXT) | instid1(SALU_CYCLE_1)
	s_lshl_b64 s[0:1], s[0:1], 3
	s_add_u32 s2, s6, s0
	s_addc_u32 s3, s7, s1
	s_lshl_b64 s[0:1], s[8:9], 3
	s_delay_alu instid0(SALU_CYCLE_1)
	s_add_u32 s8, s2, s0
	s_addc_u32 s9, s3, s1
	s_lshl_b32 s14, s14, 6
	s_or_b32 s0, s12, s13
	v_or_b32_e32 v8, s14, v9
	s_and_b32 s1, s0, 0x7fffffff
	v_cmp_gt_u32_e64 s0, 64, v7
	s_cmp_lg_u32 s1, 0
	s_mov_b32 s1, -1
	v_cmp_gt_i32_e32 vcc_lo, s17, v8
	s_cbranch_scc1 .LBB0_10
; %bb.4:
	s_and_b32 s1, s0, vcc_lo
	s_delay_alu instid0(SALU_CYCLE_1)
	s_and_saveexec_b32 s0, s1
	s_cbranch_execz .LBB0_9
; %bb.5:
	v_or_b32_e32 v0, s14, v6
	s_delay_alu instid0(VALU_DEP_1)
	v_cmp_gt_i32_e32 vcc_lo, s17, v0
	s_and_b32 exec_lo, exec_lo, vcc_lo
	s_cbranch_execz .LBB0_9
; %bb.6:
	v_ashrrev_i32_e32 v1, 31, v0
	v_mul_lo_u32 v2, v0, s11
	v_mad_u64_u32 v[3:4], null, v0, s10, 0
	v_cmp_neq_f32_e64 s1, s4, 0
	s_delay_alu instid0(VALU_DEP_4) | instskip(SKIP_1) | instid1(VALU_DEP_1)
	v_mul_lo_u32 v1, v1, s10
	v_cmp_neq_f32_e64 s2, s5, 0
	s_or_b32 s1, s1, s2
	s_delay_alu instid0(SALU_CYCLE_1) | instskip(NEXT) | instid1(VALU_DEP_2)
	s_and_not1_b32 vcc_lo, exec_lo, s1
	v_add3_u32 v4, v4, v2, v1
	v_mov_b32_e32 v2, 0
	s_delay_alu instid0(VALU_DEP_2)
	v_lshlrev_b64 v[0:1], 3, v[3:4]
	v_mov_b32_e32 v3, 0
	s_cbranch_vccnz .LBB0_8
; %bb.7:
	s_delay_alu instid0(VALU_DEP_2) | instskip(NEXT) | instid1(VALU_DEP_3)
	v_add_co_u32 v2, vcc_lo, s8, v0
	v_add_co_ci_u32_e32 v3, vcc_lo, s9, v1, vcc_lo
	global_load_b64 v[4:5], v[2:3], off
	s_waitcnt vmcnt(0)
	v_mul_f32_e32 v3, s4, v5
	s_delay_alu instid0(VALU_DEP_1) | instskip(NEXT) | instid1(VALU_DEP_1)
	v_dual_mul_f32 v2, s5, v5 :: v_dual_fmac_f32 v3, s5, v4
	v_fma_f32 v2, s4, v4, -v2
.LBB0_8:
	s_delay_alu instid0(VALU_DEP_2) | instskip(NEXT) | instid1(VALU_DEP_3)
	v_add_co_u32 v0, vcc_lo, s8, v0
	v_add_co_ci_u32_e32 v1, vcc_lo, s9, v1, vcc_lo
	global_store_b64 v[0:1], v[2:3], off
.LBB0_9:
	s_or_b32 exec_lo, exec_lo, s0
	s_mov_b32 s1, 0
.LBB0_10:
	s_delay_alu instid0(SALU_CYCLE_1)
	s_and_not1_b32 vcc_lo, exec_lo, s1
	s_cbranch_vccnz .LBB0_24
; %bb.11:
	v_lshrrev_b32_e32 v10, 6, v7
	v_dual_mov_b32 v1, 0 :: v_dual_mov_b32 v0, 0
	s_mov_b32 s34, 0
	s_mov_b32 s33, exec_lo
	s_delay_alu instid0(VALU_DEP_2)
	v_cmpx_gt_i32_e64 s17, v10
	s_cbranch_execz .LBB0_19
; %bb.12:
	v_lshrrev_b32_e32 v4, 6, v7
	s_mul_i32 s1, s15, s23
	s_mul_hi_u32 s2, s15, s22
	s_mul_i32 s0, s15, s22
	s_add_i32 s1, s2, s1
	v_mad_u64_u32 v[0:1], null, s28, v4, 0
	s_lshl_b64 s[0:1], s[0:1], 3
	s_mul_i32 s3, s31, s15
	s_add_u32 s7, s18, s0
	s_addc_u32 s18, s19, s1
	s_lshl_b64 s[0:1], s[20:21], 3
	s_mul_hi_u32 s6, s30, s15
	s_delay_alu instid0(VALU_DEP_1)
	v_mad_u64_u32 v[2:3], null, s29, v4, v[1:2]
	s_mul_i32 s2, s30, s15
	s_add_u32 s15, s7, s0
	s_addc_u32 s18, s18, s1
	s_bitcmp1_b32 s16, 0
	v_cmp_gt_i32_e32 vcc_lo, s17, v8
	s_cselect_b32 s0, -1, 0
	s_delay_alu instid0(VALU_DEP_2)
	v_mov_b32_e32 v1, v2
	s_lshl_b32 s1, s17, 1
	s_add_i32 s3, s6, s3
	s_lshl_b64 s[6:7], s[26:27], 3
	s_or_b32 s16, s1, 1
	v_lshlrev_b64 v[0:1], 3, v[0:1]
	s_lshl_b64 s[2:3], s[2:3], 3
	s_add_u32 s1, s24, s6
	s_addc_u32 s6, s25, s7
	s_add_u32 s1, s1, s2
	s_addc_u32 s2, s6, s3
	v_add_co_u32 v0, s1, s1, v0
	s_delay_alu instid0(VALU_DEP_1) | instskip(SKIP_1) | instid1(VALU_DEP_3)
	v_add_co_ci_u32_e64 v3, s1, s2, v1, s1
	v_mov_b32_e32 v1, 0
	v_add_co_u32 v2, s1, v0, 4
	v_add_nc_u32_e32 v11, s14, v9
	s_delay_alu instid0(VALU_DEP_4) | instskip(NEXT) | instid1(VALU_DEP_4)
	v_add_co_ci_u32_e64 v3, s1, 0, v3, s1
	v_mov_b32_e32 v0, v1
	s_lshl_b64 s[6:7], s[28:29], 7
	s_xor_b32 s19, s0, -1
	s_branch .LBB0_15
.LBB0_13:                               ;   in Loop: Header=BB0_15 Depth=1
	s_or_b32 exec_lo, exec_lo, s3
	global_load_b64 v[13:14], v[2:3], off offset:-4
	global_load_b32 v4, v[4:5], off
	s_waitcnt vmcnt(1)
	v_mul_f32_e32 v5, v12, v14
	s_waitcnt vmcnt(0)
	v_mul_f32_e32 v14, v4, v14
	s_delay_alu instid0(VALU_DEP_2) | instskip(NEXT) | instid1(VALU_DEP_2)
	v_fma_f32 v4, v4, v13, -v5
	v_fmac_f32_e32 v14, v12, v13
	s_delay_alu instid0(VALU_DEP_1)
	v_dual_add_f32 v0, v0, v4 :: v_dual_add_f32 v1, v1, v14
.LBB0_14:                               ;   in Loop: Header=BB0_15 Depth=1
	s_or_b32 exec_lo, exec_lo, s20
	v_add_nc_u32_e32 v10, 16, v10
	v_add_co_u32 v2, s2, v2, s6
	s_delay_alu instid0(VALU_DEP_1) | instskip(NEXT) | instid1(VALU_DEP_3)
	v_add_co_ci_u32_e64 v3, s2, s7, v3, s2
	v_cmp_le_i32_e64 s1, s17, v10
	s_delay_alu instid0(VALU_DEP_1) | instskip(NEXT) | instid1(SALU_CYCLE_1)
	s_or_b32 s34, s1, s34
	s_and_not1_b32 exec_lo, exec_lo, s34
	s_cbranch_execz .LBB0_18
.LBB0_15:                               ; =>This Inner Loop Header: Depth=1
	s_and_saveexec_b32 s20, vcc_lo
	s_cbranch_execz .LBB0_14
; %bb.16:                               ;   in Loop: Header=BB0_15 Depth=1
	v_cmp_le_i32_e64 s1, v8, v10
	v_cmp_ge_i32_e64 s2, v8, v10
	s_delay_alu instid0(VALU_DEP_2) | instskip(NEXT) | instid1(VALU_DEP_1)
	s_or_b32 s1, s1, s19
	s_or_b32 s2, s2, s0
	s_delay_alu instid0(SALU_CYCLE_1) | instskip(NEXT) | instid1(SALU_CYCLE_1)
	s_and_b32 s1, s1, s2
	v_cndmask_b32_e64 v13, v8, v10, s1
	v_cndmask_b32_e64 v12, v10, v8, s1
	s_delay_alu instid0(VALU_DEP_2) | instskip(SKIP_1) | instid1(VALU_DEP_1)
	v_sub_nc_u32_e32 v4, s16, v13
	v_add_nc_u32_e32 v5, 1, v13
	v_cndmask_b32_e64 v14, v4, v5, s0
	s_delay_alu instid0(VALU_DEP_1) | instskip(SKIP_1) | instid1(VALU_DEP_1)
	v_mad_i64_i32 v[4:5], null, v14, v13, 0
	v_cndmask_b32_e64 v13, v13, 0, s0
	v_sub_nc_u32_e32 v12, v12, v13
	s_delay_alu instid0(VALU_DEP_3) | instskip(NEXT) | instid1(VALU_DEP_2)
	v_lshrrev_b32_e32 v14, 31, v5
	v_ashrrev_i32_e32 v13, 31, v12
	s_delay_alu instid0(VALU_DEP_2) | instskip(NEXT) | instid1(VALU_DEP_1)
	v_add_co_u32 v4, s2, v4, v14
	v_add_co_ci_u32_e64 v5, s2, 0, v5, s2
	s_delay_alu instid0(VALU_DEP_3) | instskip(NEXT) | instid1(VALU_DEP_2)
	v_lshlrev_b64 v[12:13], 3, v[12:13]
	v_lshlrev_b64 v[4:5], 2, v[4:5]
	s_delay_alu instid0(VALU_DEP_1) | instskip(NEXT) | instid1(VALU_DEP_1)
	v_and_b32_e32 v4, -8, v4
	v_add_co_u32 v4, s2, s15, v4
	s_delay_alu instid0(VALU_DEP_1) | instskip(NEXT) | instid1(VALU_DEP_2)
	v_add_co_ci_u32_e64 v5, s2, s18, v5, s2
	v_add_co_u32 v4, s3, v4, v12
	v_mov_b32_e32 v12, 0
	s_delay_alu instid0(VALU_DEP_3)
	v_add_co_ci_u32_e64 v5, s3, v5, v13, s3
	s_mov_b32 s3, exec_lo
	v_cmpx_ne_u32_e64 v11, v10
	s_cbranch_execz .LBB0_13
; %bb.17:                               ;   in Loop: Header=BB0_15 Depth=1
	global_load_b32 v12, v[4:5], off offset:4
	s_waitcnt vmcnt(0)
	v_cndmask_b32_e64 v12, -v12, v12, s1
	s_branch .LBB0_13
.LBB0_18:
	s_or_b32 exec_lo, exec_lo, s34
.LBB0_19:
	s_delay_alu instid0(SALU_CYCLE_1) | instskip(SKIP_3) | instid1(VALU_DEP_3)
	s_or_b32 exec_lo, exec_lo, s33
	v_and_or_b32 v2, 0x1ffc0, v7, v9
	v_cmp_gt_u32_e32 vcc_lo, 64, v7
	v_cmp_gt_i32_e64 s0, s17, v8
	v_lshlrev_b32_e32 v2, 3, v2
	s_delay_alu instid0(VALU_DEP_2)
	s_and_b32 s0, vcc_lo, s0
	ds_store_b64 v2, v[0:1]
	s_waitcnt lgkmcnt(0)
	s_waitcnt_vscnt null, 0x0
	s_barrier
	buffer_gl0_inv
	s_and_saveexec_b32 s1, s0
	s_cbranch_execz .LBB0_24
; %bb.20:
	v_lshlrev_b32_e32 v7, 3, v7
	v_lshlrev_b32_e32 v4, 3, v6
	s_ashr_i32 s1, s17, 31
	s_mov_b32 s0, s17
	ds_load_b64 v[0:1], v7
	ds_load_b64 v[2:3], v4 offset:512
	s_waitcnt lgkmcnt(0)
	v_dual_add_f32 v1, v1, v3 :: v_dual_add_f32 v0, v0, v2
	ds_store_b64 v7, v[0:1]
	ds_load_b64 v[2:3], v4 offset:1024
	s_waitcnt lgkmcnt(0)
	v_dual_add_f32 v0, v0, v2 :: v_dual_add_f32 v1, v1, v3
	ds_store_b64 v7, v[0:1]
	;; [unrolled: 4-line block ×13, first 2 shown]
	ds_load_b64 v[2:3], v4 offset:7168
	s_waitcnt lgkmcnt(0)
	v_dual_add_f32 v2, v0, v2 :: v_dual_add_f32 v3, v1, v3
	v_or_b32_e32 v0, s14, v6
	ds_store_b64 v7, v[2:3]
	ds_load_b64 v[4:5], v4 offset:7680
	s_waitcnt lgkmcnt(0)
	v_dual_mov_b32 v1, 0 :: v_dual_add_f32 v2, v2, v4
	s_delay_alu instid0(VALU_DEP_1)
	v_cmp_gt_i64_e32 vcc_lo, s[0:1], v[0:1]
	v_add_f32_e32 v3, v3, v5
	ds_store_b64 v7, v[2:3]
	s_and_b32 exec_lo, exec_lo, vcc_lo
	s_cbranch_execz .LBB0_24
; %bb.21:
	v_mad_u64_u32 v[4:5], null, v0, s10, 0
	v_cmp_neq_f32_e64 s0, s4, 0
	v_cmp_neq_f32_e64 s1, s5, 0
	s_delay_alu instid0(VALU_DEP_1) | instskip(NEXT) | instid1(VALU_DEP_3)
	s_or_b32 s0, s0, s1
	v_mov_b32_e32 v1, v5
	s_and_not1_b32 vcc_lo, exec_lo, s0
	s_delay_alu instid0(VALU_DEP_1) | instskip(SKIP_2) | instid1(VALU_DEP_2)
	v_mad_u64_u32 v[5:6], null, v0, s11, v[1:2]
	v_mul_f32_e32 v0, s13, v3
	v_mul_f32_e32 v1, s12, v3
	v_fma_f32 v0, v2, s12, -v0
	s_delay_alu instid0(VALU_DEP_4) | instskip(NEXT) | instid1(VALU_DEP_3)
	v_lshlrev_b64 v[3:4], 3, v[4:5]
	v_fmac_f32_e32 v1, s13, v2
	s_cbranch_vccnz .LBB0_23
; %bb.22:
	s_delay_alu instid0(VALU_DEP_2) | instskip(NEXT) | instid1(VALU_DEP_3)
	v_add_co_u32 v5, vcc_lo, s8, v3
	v_add_co_ci_u32_e32 v6, vcc_lo, s9, v4, vcc_lo
	global_load_b64 v[5:6], v[5:6], off
	s_waitcnt vmcnt(0)
	v_mul_f32_e32 v2, s5, v6
	v_mul_f32_e32 v6, s4, v6
	s_delay_alu instid0(VALU_DEP_2) | instskip(NEXT) | instid1(VALU_DEP_2)
	v_fma_f32 v2, s4, v5, -v2
	v_fmac_f32_e32 v6, s5, v5
	s_delay_alu instid0(VALU_DEP_2) | instskip(NEXT) | instid1(VALU_DEP_2)
	v_add_f32_e32 v0, v0, v2
	v_add_f32_e32 v1, v1, v6
.LBB0_23:
	s_delay_alu instid0(VALU_DEP_2) | instskip(NEXT) | instid1(VALU_DEP_3)
	v_add_co_u32 v2, vcc_lo, s8, v3
	v_add_co_ci_u32_e32 v3, vcc_lo, s9, v4, vcc_lo
	global_store_b64 v[2:3], v[0:1], off
.LBB0_24:
	s_nop 0
	s_sendmsg sendmsg(MSG_DEALLOC_VGPRS)
	s_endpgm
	.section	.rodata,"a",@progbits
	.p2align	6, 0x0
	.amdhsa_kernel _ZL19rocblas_hpmv_kernelILi64ELi16EPK19rocblas_complex_numIfES3_PS1_EvbiT1_T2_llS6_lllS5_T3_llli
		.amdhsa_group_segment_fixed_size 8192
		.amdhsa_private_segment_fixed_size 0
		.amdhsa_kernarg_size 116
		.amdhsa_user_sgpr_count 14
		.amdhsa_user_sgpr_dispatch_ptr 0
		.amdhsa_user_sgpr_queue_ptr 0
		.amdhsa_user_sgpr_kernarg_segment_ptr 1
		.amdhsa_user_sgpr_dispatch_id 0
		.amdhsa_user_sgpr_private_segment_size 0
		.amdhsa_wavefront_size32 1
		.amdhsa_uses_dynamic_stack 0
		.amdhsa_enable_private_segment 0
		.amdhsa_system_sgpr_workgroup_id_x 1
		.amdhsa_system_sgpr_workgroup_id_y 0
		.amdhsa_system_sgpr_workgroup_id_z 1
		.amdhsa_system_sgpr_workgroup_info 0
		.amdhsa_system_vgpr_workitem_id 1
		.amdhsa_next_free_vgpr 15
		.amdhsa_next_free_sgpr 35
		.amdhsa_reserve_vcc 1
		.amdhsa_float_round_mode_32 0
		.amdhsa_float_round_mode_16_64 0
		.amdhsa_float_denorm_mode_32 3
		.amdhsa_float_denorm_mode_16_64 3
		.amdhsa_dx10_clamp 1
		.amdhsa_ieee_mode 1
		.amdhsa_fp16_overflow 0
		.amdhsa_workgroup_processor_mode 1
		.amdhsa_memory_ordered 1
		.amdhsa_forward_progress 0
		.amdhsa_shared_vgpr_count 0
		.amdhsa_exception_fp_ieee_invalid_op 0
		.amdhsa_exception_fp_denorm_src 0
		.amdhsa_exception_fp_ieee_div_zero 0
		.amdhsa_exception_fp_ieee_overflow 0
		.amdhsa_exception_fp_ieee_underflow 0
		.amdhsa_exception_fp_ieee_inexact 0
		.amdhsa_exception_int_div_zero 0
	.end_amdhsa_kernel
	.section	.text._ZL19rocblas_hpmv_kernelILi64ELi16EPK19rocblas_complex_numIfES3_PS1_EvbiT1_T2_llS6_lllS5_T3_llli,"axG",@progbits,_ZL19rocblas_hpmv_kernelILi64ELi16EPK19rocblas_complex_numIfES3_PS1_EvbiT1_T2_llS6_lllS5_T3_llli,comdat
.Lfunc_end0:
	.size	_ZL19rocblas_hpmv_kernelILi64ELi16EPK19rocblas_complex_numIfES3_PS1_EvbiT1_T2_llS6_lllS5_T3_llli, .Lfunc_end0-_ZL19rocblas_hpmv_kernelILi64ELi16EPK19rocblas_complex_numIfES3_PS1_EvbiT1_T2_llS6_lllS5_T3_llli
                                        ; -- End function
	.section	.AMDGPU.csdata,"",@progbits
; Kernel info:
; codeLenInByte = 1832
; NumSgprs: 37
; NumVgprs: 15
; ScratchSize: 0
; MemoryBound: 0
; FloatMode: 240
; IeeeMode: 1
; LDSByteSize: 8192 bytes/workgroup (compile time only)
; SGPRBlocks: 4
; VGPRBlocks: 1
; NumSGPRsForWavesPerEU: 37
; NumVGPRsForWavesPerEU: 15
; Occupancy: 16
; WaveLimiterHint : 0
; COMPUTE_PGM_RSRC2:SCRATCH_EN: 0
; COMPUTE_PGM_RSRC2:USER_SGPR: 14
; COMPUTE_PGM_RSRC2:TRAP_HANDLER: 0
; COMPUTE_PGM_RSRC2:TGID_X_EN: 1
; COMPUTE_PGM_RSRC2:TGID_Y_EN: 0
; COMPUTE_PGM_RSRC2:TGID_Z_EN: 1
; COMPUTE_PGM_RSRC2:TIDIG_COMP_CNT: 1
	.section	.text._ZL19rocblas_hpmv_kernelILi64ELi16E19rocblas_complex_numIfEPKS1_PS1_EvbiT1_T2_llS6_lllS5_T3_llli,"axG",@progbits,_ZL19rocblas_hpmv_kernelILi64ELi16E19rocblas_complex_numIfEPKS1_PS1_EvbiT1_T2_llS6_lllS5_T3_llli,comdat
	.globl	_ZL19rocblas_hpmv_kernelILi64ELi16E19rocblas_complex_numIfEPKS1_PS1_EvbiT1_T2_llS6_lllS5_T3_llli ; -- Begin function _ZL19rocblas_hpmv_kernelILi64ELi16E19rocblas_complex_numIfEPKS1_PS1_EvbiT1_T2_llS6_lllS5_T3_llli
	.p2align	8
	.type	_ZL19rocblas_hpmv_kernelILi64ELi16E19rocblas_complex_numIfEPKS1_PS1_EvbiT1_T2_llS6_lllS5_T3_llli,@function
_ZL19rocblas_hpmv_kernelILi64ELi16E19rocblas_complex_numIfEPKS1_PS1_EvbiT1_T2_llS6_lllS5_T3_llli: ; @_ZL19rocblas_hpmv_kernelILi64ELi16E19rocblas_complex_numIfEPKS1_PS1_EvbiT1_T2_llS6_lllS5_T3_llli
; %bb.0:
	s_clause 0x1
	s_load_b128 s[24:27], s[0:1], 0x0
	s_load_b64 s[12:13], s[0:1], 0x48
	s_waitcnt lgkmcnt(0)
	v_cmp_neq_f32_e64 s2, s26, 0
	v_cmp_neq_f32_e64 s3, s27, 0
	s_delay_alu instid0(VALU_DEP_1) | instskip(NEXT) | instid1(SALU_CYCLE_1)
	s_or_b32 s2, s2, s3
	s_and_b32 vcc_lo, exec_lo, s2
	s_mov_b32 s2, -1
	s_cbranch_vccnz .LBB1_2
; %bb.1:
	v_cmp_neq_f32_e64 s2, s12, 1.0
	v_cmp_neq_f32_e64 s3, s13, 0
	s_delay_alu instid0(VALU_DEP_1)
	s_or_b32 s2, s2, s3
.LBB1_2:
	s_delay_alu instid0(SALU_CYCLE_1)
	s_and_not1_b32 vcc_lo, exec_lo, s2
	s_cbranch_vccnz .LBB1_24
; %bb.3:
	s_load_b256 s[4:11], s[0:1], 0x50
	v_and_b32_e32 v6, 0x3ff, v0
	v_bfe_u32 v0, v0, 10, 10
	s_delay_alu instid0(VALU_DEP_2) | instskip(NEXT) | instid1(VALU_DEP_2)
	v_and_b32_e32 v9, 63, v6
	v_lshl_add_u32 v7, v0, 6, v6
	s_waitcnt lgkmcnt(0)
	s_mul_i32 s3, s15, s11
	s_mul_hi_u32 s11, s15, s10
	s_mul_i32 s2, s15, s10
	s_add_i32 s3, s11, s3
	s_delay_alu instid0(SALU_CYCLE_1) | instskip(NEXT) | instid1(SALU_CYCLE_1)
	s_lshl_b64 s[2:3], s[2:3], 3
	s_add_u32 s4, s4, s2
	s_addc_u32 s5, s5, s3
	s_lshl_b64 s[2:3], s[6:7], 3
	s_delay_alu instid0(SALU_CYCLE_1)
	s_add_u32 s10, s4, s2
	s_addc_u32 s11, s5, s3
	s_lshl_b32 s14, s14, 6
	s_or_b32 s2, s26, s27
	v_or_b32_e32 v8, s14, v9
	s_and_b32 s3, s2, 0x7fffffff
	v_cmp_gt_u32_e64 s2, 64, v7
	s_cmp_lg_u32 s3, 0
	s_mov_b32 s3, -1
	v_cmp_gt_i32_e32 vcc_lo, s25, v8
	s_cbranch_scc1 .LBB1_10
; %bb.4:
	s_and_b32 s3, s2, vcc_lo
	s_delay_alu instid0(SALU_CYCLE_1)
	s_and_saveexec_b32 s2, s3
	s_cbranch_execz .LBB1_9
; %bb.5:
	v_or_b32_e32 v0, s14, v6
	s_delay_alu instid0(VALU_DEP_1)
	v_cmp_gt_i32_e32 vcc_lo, s25, v0
	s_and_b32 exec_lo, exec_lo, vcc_lo
	s_cbranch_execz .LBB1_9
; %bb.6:
	v_ashrrev_i32_e32 v1, 31, v0
	v_mul_lo_u32 v2, v0, s9
	v_mad_u64_u32 v[3:4], null, v0, s8, 0
	v_cmp_neq_f32_e64 s3, s12, 0
	s_delay_alu instid0(VALU_DEP_4) | instskip(SKIP_1) | instid1(VALU_DEP_1)
	v_mul_lo_u32 v1, v1, s8
	v_cmp_neq_f32_e64 s4, s13, 0
	s_or_b32 s3, s3, s4
	s_delay_alu instid0(SALU_CYCLE_1) | instskip(NEXT) | instid1(VALU_DEP_2)
	s_and_not1_b32 vcc_lo, exec_lo, s3
	v_add3_u32 v4, v4, v2, v1
	v_mov_b32_e32 v2, 0
	s_delay_alu instid0(VALU_DEP_2)
	v_lshlrev_b64 v[0:1], 3, v[3:4]
	v_mov_b32_e32 v3, 0
	s_cbranch_vccnz .LBB1_8
; %bb.7:
	s_delay_alu instid0(VALU_DEP_2) | instskip(NEXT) | instid1(VALU_DEP_3)
	v_add_co_u32 v2, vcc_lo, s10, v0
	v_add_co_ci_u32_e32 v3, vcc_lo, s11, v1, vcc_lo
	global_load_b64 v[4:5], v[2:3], off
	s_waitcnt vmcnt(0)
	v_mul_f32_e32 v3, s12, v5
	s_delay_alu instid0(VALU_DEP_1) | instskip(NEXT) | instid1(VALU_DEP_1)
	v_dual_mul_f32 v2, s13, v5 :: v_dual_fmac_f32 v3, s13, v4
	v_fma_f32 v2, s12, v4, -v2
.LBB1_8:
	s_delay_alu instid0(VALU_DEP_2) | instskip(NEXT) | instid1(VALU_DEP_3)
	v_add_co_u32 v0, vcc_lo, s10, v0
	v_add_co_ci_u32_e32 v1, vcc_lo, s11, v1, vcc_lo
	global_store_b64 v[0:1], v[2:3], off
.LBB1_9:
	s_or_b32 exec_lo, exec_lo, s2
	s_mov_b32 s3, 0
.LBB1_10:
	s_delay_alu instid0(SALU_CYCLE_1)
	s_and_not1_b32 vcc_lo, exec_lo, s3
	s_cbranch_vccnz .LBB1_24
; %bb.11:
	v_lshrrev_b32_e32 v10, 6, v7
	v_dual_mov_b32 v1, 0 :: v_dual_mov_b32 v0, 0
	s_mov_b32 s29, 0
	s_mov_b32 s28, exec_lo
	s_delay_alu instid0(VALU_DEP_2)
	v_cmpx_gt_i32_e64 s25, v10
	s_cbranch_execz .LBB1_19
; %bb.12:
	s_clause 0x1
	s_load_b256 s[16:23], s[0:1], 0x30
	s_load_b256 s[0:7], s[0:1], 0x10
	v_lshrrev_b32_e32 v4, 6, v7
	v_cmp_gt_i32_e32 vcc_lo, s25, v8
	s_waitcnt lgkmcnt(0)
	s_delay_alu instid0(VALU_DEP_2)
	v_mad_u64_u32 v[0:1], null, s18, v4, 0
	s_mul_i32 s5, s15, s5
	s_mul_hi_u32 s22, s15, s4
	s_mul_i32 s4, s15, s4
	s_add_i32 s5, s22, s5
	s_mul_i32 s23, s21, s15
	s_lshl_b64 s[4:5], s[4:5], 3
	s_delay_alu instid0(VALU_DEP_1)
	v_mad_u64_u32 v[2:3], null, s19, v4, v[1:2]
	s_add_u32 s4, s0, s4
	s_addc_u32 s5, s1, s5
	s_lshl_b64 s[0:1], s[2:3], 3
	s_mul_hi_u32 s3, s20, s15
	s_add_u32 s21, s4, s0
	s_addc_u32 s22, s5, s1
	s_delay_alu instid0(VALU_DEP_1)
	v_mov_b32_e32 v1, v2
	s_bitcmp1_b32 s24, 0
	s_mul_i32 s2, s20, s15
	s_cselect_b32 s0, -1, 0
	s_lshl_b32 s1, s25, 1
	s_add_i32 s3, s3, s23
	s_lshl_b64 s[4:5], s[16:17], 3
	v_lshlrev_b64 v[0:1], 3, v[0:1]
	s_or_b32 s15, s1, 1
	s_lshl_b64 s[2:3], s[2:3], 3
	s_add_u32 s1, s6, s4
	s_addc_u32 s4, s7, s5
	s_add_u32 s1, s1, s2
	s_addc_u32 s2, s4, s3
	v_add_co_u32 v0, s1, s1, v0
	s_delay_alu instid0(VALU_DEP_1) | instskip(SKIP_1) | instid1(VALU_DEP_3)
	v_add_co_ci_u32_e64 v3, s1, s2, v1, s1
	v_mov_b32_e32 v1, 0
	v_add_co_u32 v2, s1, v0, 4
	v_add_nc_u32_e32 v11, s14, v9
	s_delay_alu instid0(VALU_DEP_4) | instskip(NEXT) | instid1(VALU_DEP_4)
	v_add_co_ci_u32_e64 v3, s1, 0, v3, s1
	v_mov_b32_e32 v0, v1
	s_lshl_b64 s[4:5], s[18:19], 7
	s_xor_b32 s6, s0, -1
	s_branch .LBB1_15
.LBB1_13:                               ;   in Loop: Header=BB1_15 Depth=1
	s_or_b32 exec_lo, exec_lo, s3
	global_load_b64 v[13:14], v[2:3], off offset:-4
	global_load_b32 v4, v[4:5], off
	s_waitcnt vmcnt(1)
	v_mul_f32_e32 v5, v12, v14
	s_waitcnt vmcnt(0)
	v_mul_f32_e32 v14, v4, v14
	s_delay_alu instid0(VALU_DEP_2) | instskip(NEXT) | instid1(VALU_DEP_2)
	v_fma_f32 v4, v4, v13, -v5
	v_fmac_f32_e32 v14, v12, v13
	s_delay_alu instid0(VALU_DEP_1)
	v_dual_add_f32 v0, v0, v4 :: v_dual_add_f32 v1, v1, v14
.LBB1_14:                               ;   in Loop: Header=BB1_15 Depth=1
	s_or_b32 exec_lo, exec_lo, s7
	v_add_nc_u32_e32 v10, 16, v10
	v_add_co_u32 v2, s2, v2, s4
	s_delay_alu instid0(VALU_DEP_1) | instskip(NEXT) | instid1(VALU_DEP_3)
	v_add_co_ci_u32_e64 v3, s2, s5, v3, s2
	v_cmp_le_i32_e64 s1, s25, v10
	s_delay_alu instid0(VALU_DEP_1) | instskip(NEXT) | instid1(SALU_CYCLE_1)
	s_or_b32 s29, s1, s29
	s_and_not1_b32 exec_lo, exec_lo, s29
	s_cbranch_execz .LBB1_18
.LBB1_15:                               ; =>This Inner Loop Header: Depth=1
	s_and_saveexec_b32 s7, vcc_lo
	s_cbranch_execz .LBB1_14
; %bb.16:                               ;   in Loop: Header=BB1_15 Depth=1
	v_cmp_le_i32_e64 s1, v8, v10
	v_cmp_ge_i32_e64 s2, v8, v10
	s_delay_alu instid0(VALU_DEP_2) | instskip(NEXT) | instid1(VALU_DEP_1)
	s_or_b32 s1, s1, s6
	s_or_b32 s2, s2, s0
	s_delay_alu instid0(SALU_CYCLE_1) | instskip(NEXT) | instid1(SALU_CYCLE_1)
	s_and_b32 s1, s1, s2
	v_cndmask_b32_e64 v13, v8, v10, s1
	v_cndmask_b32_e64 v12, v10, v8, s1
	s_delay_alu instid0(VALU_DEP_2) | instskip(SKIP_1) | instid1(VALU_DEP_1)
	v_sub_nc_u32_e32 v4, s15, v13
	v_add_nc_u32_e32 v5, 1, v13
	v_cndmask_b32_e64 v14, v4, v5, s0
	s_delay_alu instid0(VALU_DEP_1) | instskip(SKIP_1) | instid1(VALU_DEP_1)
	v_mad_i64_i32 v[4:5], null, v14, v13, 0
	v_cndmask_b32_e64 v13, v13, 0, s0
	v_sub_nc_u32_e32 v12, v12, v13
	s_delay_alu instid0(VALU_DEP_3) | instskip(NEXT) | instid1(VALU_DEP_2)
	v_lshrrev_b32_e32 v14, 31, v5
	v_ashrrev_i32_e32 v13, 31, v12
	s_delay_alu instid0(VALU_DEP_2) | instskip(NEXT) | instid1(VALU_DEP_1)
	v_add_co_u32 v4, s2, v4, v14
	v_add_co_ci_u32_e64 v5, s2, 0, v5, s2
	s_delay_alu instid0(VALU_DEP_3) | instskip(NEXT) | instid1(VALU_DEP_2)
	v_lshlrev_b64 v[12:13], 3, v[12:13]
	v_lshlrev_b64 v[4:5], 2, v[4:5]
	s_delay_alu instid0(VALU_DEP_1) | instskip(NEXT) | instid1(VALU_DEP_1)
	v_and_b32_e32 v4, -8, v4
	v_add_co_u32 v4, s2, s21, v4
	s_delay_alu instid0(VALU_DEP_1) | instskip(NEXT) | instid1(VALU_DEP_2)
	v_add_co_ci_u32_e64 v5, s2, s22, v5, s2
	v_add_co_u32 v4, s3, v4, v12
	v_mov_b32_e32 v12, 0
	s_delay_alu instid0(VALU_DEP_3)
	v_add_co_ci_u32_e64 v5, s3, v5, v13, s3
	s_mov_b32 s3, exec_lo
	v_cmpx_ne_u32_e64 v11, v10
	s_cbranch_execz .LBB1_13
; %bb.17:                               ;   in Loop: Header=BB1_15 Depth=1
	global_load_b32 v12, v[4:5], off offset:4
	s_waitcnt vmcnt(0)
	v_cndmask_b32_e64 v12, -v12, v12, s1
	s_branch .LBB1_13
.LBB1_18:
	s_or_b32 exec_lo, exec_lo, s29
.LBB1_19:
	s_delay_alu instid0(SALU_CYCLE_1) | instskip(SKIP_3) | instid1(VALU_DEP_3)
	s_or_b32 exec_lo, exec_lo, s28
	v_and_or_b32 v2, 0x1ffc0, v7, v9
	v_cmp_gt_u32_e32 vcc_lo, 64, v7
	v_cmp_gt_i32_e64 s0, s25, v8
	v_lshlrev_b32_e32 v2, 3, v2
	s_delay_alu instid0(VALU_DEP_2)
	s_and_b32 s0, vcc_lo, s0
	ds_store_b64 v2, v[0:1]
	s_waitcnt lgkmcnt(0)
	s_waitcnt_vscnt null, 0x0
	s_barrier
	buffer_gl0_inv
	s_and_saveexec_b32 s1, s0
	s_cbranch_execz .LBB1_24
; %bb.20:
	v_lshlrev_b32_e32 v7, 3, v7
	v_lshlrev_b32_e32 v4, 3, v6
	s_ashr_i32 s1, s25, 31
	s_mov_b32 s0, s25
	ds_load_b64 v[0:1], v7
	ds_load_b64 v[2:3], v4 offset:512
	s_waitcnt lgkmcnt(0)
	v_dual_add_f32 v1, v1, v3 :: v_dual_add_f32 v0, v0, v2
	ds_store_b64 v7, v[0:1]
	ds_load_b64 v[2:3], v4 offset:1024
	s_waitcnt lgkmcnt(0)
	v_dual_add_f32 v0, v0, v2 :: v_dual_add_f32 v1, v1, v3
	ds_store_b64 v7, v[0:1]
	;; [unrolled: 4-line block ×13, first 2 shown]
	ds_load_b64 v[2:3], v4 offset:7168
	s_waitcnt lgkmcnt(0)
	v_dual_add_f32 v2, v0, v2 :: v_dual_add_f32 v3, v1, v3
	v_or_b32_e32 v0, s14, v6
	ds_store_b64 v7, v[2:3]
	ds_load_b64 v[4:5], v4 offset:7680
	s_waitcnt lgkmcnt(0)
	v_dual_mov_b32 v1, 0 :: v_dual_add_f32 v2, v2, v4
	s_delay_alu instid0(VALU_DEP_1)
	v_cmp_gt_i64_e32 vcc_lo, s[0:1], v[0:1]
	v_add_f32_e32 v3, v3, v5
	ds_store_b64 v7, v[2:3]
	s_and_b32 exec_lo, exec_lo, vcc_lo
	s_cbranch_execz .LBB1_24
; %bb.21:
	v_mad_u64_u32 v[4:5], null, v0, s8, 0
	v_cmp_neq_f32_e64 s0, s12, 0
	v_cmp_neq_f32_e64 s1, s13, 0
	s_delay_alu instid0(VALU_DEP_1) | instskip(NEXT) | instid1(VALU_DEP_3)
	s_or_b32 s0, s0, s1
	v_mov_b32_e32 v1, v5
	s_and_not1_b32 vcc_lo, exec_lo, s0
	s_delay_alu instid0(VALU_DEP_1) | instskip(SKIP_2) | instid1(VALU_DEP_2)
	v_mad_u64_u32 v[5:6], null, v0, s9, v[1:2]
	v_mul_f32_e32 v0, s27, v3
	v_mul_f32_e32 v1, s26, v3
	v_fma_f32 v0, v2, s26, -v0
	s_delay_alu instid0(VALU_DEP_4) | instskip(NEXT) | instid1(VALU_DEP_3)
	v_lshlrev_b64 v[3:4], 3, v[4:5]
	v_fmac_f32_e32 v1, s27, v2
	s_cbranch_vccnz .LBB1_23
; %bb.22:
	s_delay_alu instid0(VALU_DEP_2) | instskip(NEXT) | instid1(VALU_DEP_3)
	v_add_co_u32 v5, vcc_lo, s10, v3
	v_add_co_ci_u32_e32 v6, vcc_lo, s11, v4, vcc_lo
	global_load_b64 v[5:6], v[5:6], off
	s_waitcnt vmcnt(0)
	v_mul_f32_e32 v2, s13, v6
	v_mul_f32_e32 v6, s12, v6
	s_delay_alu instid0(VALU_DEP_2) | instskip(NEXT) | instid1(VALU_DEP_2)
	v_fma_f32 v2, s12, v5, -v2
	v_fmac_f32_e32 v6, s13, v5
	s_delay_alu instid0(VALU_DEP_2) | instskip(NEXT) | instid1(VALU_DEP_2)
	v_add_f32_e32 v0, v0, v2
	v_add_f32_e32 v1, v1, v6
.LBB1_23:
	s_delay_alu instid0(VALU_DEP_2) | instskip(NEXT) | instid1(VALU_DEP_3)
	v_add_co_u32 v2, vcc_lo, s10, v3
	v_add_co_ci_u32_e32 v3, vcc_lo, s11, v4, vcc_lo
	global_store_b64 v[2:3], v[0:1], off
.LBB1_24:
	s_nop 0
	s_sendmsg sendmsg(MSG_DEALLOC_VGPRS)
	s_endpgm
	.section	.rodata,"a",@progbits
	.p2align	6, 0x0
	.amdhsa_kernel _ZL19rocblas_hpmv_kernelILi64ELi16E19rocblas_complex_numIfEPKS1_PS1_EvbiT1_T2_llS6_lllS5_T3_llli
		.amdhsa_group_segment_fixed_size 8192
		.amdhsa_private_segment_fixed_size 0
		.amdhsa_kernarg_size 116
		.amdhsa_user_sgpr_count 14
		.amdhsa_user_sgpr_dispatch_ptr 0
		.amdhsa_user_sgpr_queue_ptr 0
		.amdhsa_user_sgpr_kernarg_segment_ptr 1
		.amdhsa_user_sgpr_dispatch_id 0
		.amdhsa_user_sgpr_private_segment_size 0
		.amdhsa_wavefront_size32 1
		.amdhsa_uses_dynamic_stack 0
		.amdhsa_enable_private_segment 0
		.amdhsa_system_sgpr_workgroup_id_x 1
		.amdhsa_system_sgpr_workgroup_id_y 0
		.amdhsa_system_sgpr_workgroup_id_z 1
		.amdhsa_system_sgpr_workgroup_info 0
		.amdhsa_system_vgpr_workitem_id 1
		.amdhsa_next_free_vgpr 15
		.amdhsa_next_free_sgpr 30
		.amdhsa_reserve_vcc 1
		.amdhsa_float_round_mode_32 0
		.amdhsa_float_round_mode_16_64 0
		.amdhsa_float_denorm_mode_32 3
		.amdhsa_float_denorm_mode_16_64 3
		.amdhsa_dx10_clamp 1
		.amdhsa_ieee_mode 1
		.amdhsa_fp16_overflow 0
		.amdhsa_workgroup_processor_mode 1
		.amdhsa_memory_ordered 1
		.amdhsa_forward_progress 0
		.amdhsa_shared_vgpr_count 0
		.amdhsa_exception_fp_ieee_invalid_op 0
		.amdhsa_exception_fp_denorm_src 0
		.amdhsa_exception_fp_ieee_div_zero 0
		.amdhsa_exception_fp_ieee_overflow 0
		.amdhsa_exception_fp_ieee_underflow 0
		.amdhsa_exception_fp_ieee_inexact 0
		.amdhsa_exception_int_div_zero 0
	.end_amdhsa_kernel
	.section	.text._ZL19rocblas_hpmv_kernelILi64ELi16E19rocblas_complex_numIfEPKS1_PS1_EvbiT1_T2_llS6_lllS5_T3_llli,"axG",@progbits,_ZL19rocblas_hpmv_kernelILi64ELi16E19rocblas_complex_numIfEPKS1_PS1_EvbiT1_T2_llS6_lllS5_T3_llli,comdat
.Lfunc_end1:
	.size	_ZL19rocblas_hpmv_kernelILi64ELi16E19rocblas_complex_numIfEPKS1_PS1_EvbiT1_T2_llS6_lllS5_T3_llli, .Lfunc_end1-_ZL19rocblas_hpmv_kernelILi64ELi16E19rocblas_complex_numIfEPKS1_PS1_EvbiT1_T2_llS6_lllS5_T3_llli
                                        ; -- End function
	.section	.AMDGPU.csdata,"",@progbits
; Kernel info:
; codeLenInByte = 1828
; NumSgprs: 32
; NumVgprs: 15
; ScratchSize: 0
; MemoryBound: 0
; FloatMode: 240
; IeeeMode: 1
; LDSByteSize: 8192 bytes/workgroup (compile time only)
; SGPRBlocks: 3
; VGPRBlocks: 1
; NumSGPRsForWavesPerEU: 32
; NumVGPRsForWavesPerEU: 15
; Occupancy: 16
; WaveLimiterHint : 1
; COMPUTE_PGM_RSRC2:SCRATCH_EN: 0
; COMPUTE_PGM_RSRC2:USER_SGPR: 14
; COMPUTE_PGM_RSRC2:TRAP_HANDLER: 0
; COMPUTE_PGM_RSRC2:TGID_X_EN: 1
; COMPUTE_PGM_RSRC2:TGID_Y_EN: 0
; COMPUTE_PGM_RSRC2:TGID_Z_EN: 1
; COMPUTE_PGM_RSRC2:TIDIG_COMP_CNT: 1
	.section	.text._ZL19rocblas_hpmv_kernelILi64ELi16EPK19rocblas_complex_numIdES3_PS1_EvbiT1_T2_llS6_lllS5_T3_llli,"axG",@progbits,_ZL19rocblas_hpmv_kernelILi64ELi16EPK19rocblas_complex_numIdES3_PS1_EvbiT1_T2_llS6_lllS5_T3_llli,comdat
	.globl	_ZL19rocblas_hpmv_kernelILi64ELi16EPK19rocblas_complex_numIdES3_PS1_EvbiT1_T2_llS6_lllS5_T3_llli ; -- Begin function _ZL19rocblas_hpmv_kernelILi64ELi16EPK19rocblas_complex_numIdES3_PS1_EvbiT1_T2_llS6_lllS5_T3_llli
	.p2align	8
	.type	_ZL19rocblas_hpmv_kernelILi64ELi16EPK19rocblas_complex_numIdES3_PS1_EvbiT1_T2_llS6_lllS5_T3_llli,@function
_ZL19rocblas_hpmv_kernelILi64ELi16EPK19rocblas_complex_numIdES3_PS1_EvbiT1_T2_llS6_lllS5_T3_llli: ; @_ZL19rocblas_hpmv_kernelILi64ELi16EPK19rocblas_complex_numIdES3_PS1_EvbiT1_T2_llS6_lllS5_T3_llli
; %bb.0:
	s_clause 0x1
	s_load_b512 s[16:31], s[0:1], 0x8
	s_load_b256 s[4:11], s[0:1], 0x48
	s_waitcnt lgkmcnt(0)
	s_load_b128 s[40:43], s[16:17], 0x0
	s_load_b128 s[36:39], s[4:5], 0x0
	s_waitcnt lgkmcnt(0)
	v_cmp_neq_f64_e64 s2, s[40:41], 0
	v_cmp_neq_f64_e64 s3, s[42:43], 0
	s_delay_alu instid0(VALU_DEP_1)
	s_or_b32 s2, s2, s3
	s_mov_b32 s3, -1
	s_and_b32 vcc_lo, exec_lo, s2
	s_cbranch_vccnz .LBB2_2
; %bb.1:
	v_cmp_neq_f64_e64 s3, s[36:37], 1.0
	v_cmp_neq_f64_e64 s4, s[38:39], 0
	s_delay_alu instid0(VALU_DEP_1)
	s_or_b32 s3, s3, s4
.LBB2_2:
	s_delay_alu instid0(SALU_CYCLE_1)
	s_and_not1_b32 vcc_lo, exec_lo, s3
	s_cbranch_vccnz .LBB2_29
; %bb.3:
	s_clause 0x1
	s_load_b64 s[12:13], s[0:1], 0x68
	s_load_b64 s[4:5], s[0:1], 0x0
	v_and_b32_e32 v10, 0x3ff, v0
	s_xor_b32 s2, s2, -1
	v_bfe_u32 v0, v0, 10, 10
	s_delay_alu instid0(VALU_DEP_2) | instskip(NEXT) | instid1(VALU_DEP_2)
	v_and_b32_e32 v13, 63, v10
	v_lshl_add_u32 v11, v0, 6, v10
	s_waitcnt lgkmcnt(0)
	s_mul_i32 s1, s15, s13
	s_mul_hi_u32 s3, s15, s12
	s_mul_i32 s0, s15, s12
	s_add_i32 s1, s3, s1
	s_mov_b32 s12, 0
	s_lshl_b64 s[0:1], s[0:1], 4
	s_delay_alu instid0(SALU_CYCLE_1) | instskip(SKIP_2) | instid1(SALU_CYCLE_1)
	s_add_u32 s3, s6, s0
	s_addc_u32 s6, s7, s1
	s_lshl_b64 s[0:1], s[8:9], 4
	s_add_u32 s8, s3, s0
	s_addc_u32 s9, s6, s1
	s_lshl_b32 s13, s14, 6
	v_cmp_gt_u32_e64 s1, 64, v11
	v_or_b32_e32 v12, s13, v13
	s_and_not1_b32 vcc_lo, exec_lo, s2
	s_delay_alu instid0(VALU_DEP_1)
	v_cmp_gt_i32_e64 s0, s5, v12
	s_cbranch_vccnz .LBB2_10
; %bb.4:
	s_delay_alu instid0(VALU_DEP_1)
	s_and_b32 s2, s1, s0
	s_mov_b32 s0, 0
                                        ; implicit-def: $vgpr2_vgpr3
                                        ; implicit-def: $vgpr8_vgpr9
	s_and_saveexec_b32 s1, s2
	s_cbranch_execz .LBB2_11
; %bb.5:
	v_or_b32_e32 v0, s13, v10
	s_mov_b32 s3, 0
	s_mov_b32 s2, exec_lo
                                        ; implicit-def: $vgpr2_vgpr3
                                        ; implicit-def: $vgpr8_vgpr9
	s_delay_alu instid0(VALU_DEP_1)
	v_cmpx_gt_i32_e64 s5, v0
	s_cbranch_execz .LBB2_9
; %bb.6:
	v_cmp_neq_f64_e64 s3, s[36:37], 0
	v_cmp_neq_f64_e64 s6, s[38:39], 0
	v_ashrrev_i32_e32 v1, 31, v0
	v_mul_lo_u32 v4, v0, s11
	v_mad_u64_u32 v[8:9], null, v0, s10, 0
	v_mov_b32_e32 v2, 0
	s_delay_alu instid0(VALU_DEP_4) | instskip(SKIP_1) | instid1(VALU_DEP_2)
	v_mul_lo_u32 v0, v1, s10
	v_mov_b32_e32 v3, 0
	v_add3_u32 v9, v9, v4, v0
	s_delay_alu instid0(VALU_DEP_2) | instskip(SKIP_1) | instid1(SALU_CYCLE_1)
	v_dual_mov_b32 v0, v2 :: v_dual_mov_b32 v1, v3
	s_or_b32 s3, s3, s6
	s_and_not1_b32 vcc_lo, exec_lo, s3
	s_cbranch_vccnz .LBB2_8
; %bb.7:
	v_lshlrev_b64 v[0:1], 4, v[8:9]
	s_delay_alu instid0(VALU_DEP_1) | instskip(NEXT) | instid1(VALU_DEP_2)
	v_add_co_u32 v0, vcc_lo, s8, v0
	v_add_co_ci_u32_e32 v1, vcc_lo, s9, v1, vcc_lo
	global_load_b128 v[2:5], v[0:1], off
	s_waitcnt vmcnt(0)
	v_mul_f64 v[0:1], s[38:39], v[4:5]
	v_mul_f64 v[4:5], s[36:37], v[4:5]
	s_delay_alu instid0(VALU_DEP_2) | instskip(NEXT) | instid1(VALU_DEP_2)
	v_fma_f64 v[0:1], s[36:37], v[2:3], -v[0:1]
	v_fma_f64 v[2:3], s[38:39], v[2:3], v[4:5]
.LBB2_8:
	s_mov_b32 s3, exec_lo
.LBB2_9:
	s_or_b32 exec_lo, exec_lo, s2
	s_delay_alu instid0(SALU_CYCLE_1) | instskip(SKIP_1) | instid1(SALU_CYCLE_1)
	s_and_b32 s12, s3, exec_lo
	s_or_b32 exec_lo, exec_lo, s1
	s_and_b32 vcc_lo, exec_lo, s0
	s_cbranch_vccnz .LBB2_12
	s_branch .LBB2_27
.LBB2_10:
                                        ; implicit-def: $vgpr2_vgpr3
                                        ; implicit-def: $vgpr8_vgpr9
	s_cbranch_execnz .LBB2_12
	s_branch .LBB2_27
.LBB2_11:
	s_or_b32 exec_lo, exec_lo, s1
	s_delay_alu instid0(SALU_CYCLE_1)
	s_and_b32 vcc_lo, exec_lo, s0
	s_cbranch_vccz .LBB2_27
.LBB2_12:
	v_mov_b32_e32 v2, 0
	v_mov_b32_e32 v3, 0
	v_lshrrev_b32_e32 v14, 6, v11
	s_delay_alu instid0(VALU_DEP_3) | instskip(SKIP_1) | instid1(VALU_DEP_3)
	v_mov_b32_e32 v0, v2
	s_mov_b32 s14, exec_lo
	v_mov_b32_e32 v1, v3
	s_delay_alu instid0(VALU_DEP_3)
	v_cmpx_gt_i32_e64 s5, v14
	s_cbranch_execz .LBB2_20
; %bb.13:
	v_lshrrev_b32_e32 v2, 6, v11
	s_mul_i32 s1, s15, s23
	s_mul_hi_u32 s2, s15, s22
	s_mul_i32 s0, s15, s22
	s_add_i32 s1, s2, s1
	v_mad_u64_u32 v[0:1], null, s28, v2, 0
	s_lshl_b64 s[0:1], s[0:1], 4
	s_mul_i32 s3, s31, s15
	s_add_u32 s7, s18, s0
	s_addc_u32 s16, s19, s1
	s_lshl_b64 s[0:1], s[20:21], 4
	s_mul_hi_u32 s6, s30, s15
	s_delay_alu instid0(VALU_DEP_1)
	v_mad_u64_u32 v[4:5], null, s29, v2, v[1:2]
	s_mul_i32 s2, s30, s15
	s_add_u32 s15, s7, s0
	v_mov_b32_e32 v2, 0
	s_addc_u32 s16, s16, s1
	s_bitcmp1_b32 s4, 0
	v_mov_b32_e32 v3, 0
	s_delay_alu instid0(VALU_DEP_3)
	v_mov_b32_e32 v1, v4
	s_cselect_b32 s0, -1, 0
	s_lshl_b32 s1, s5, 1
	s_add_i32 s3, s6, s3
	s_lshl_b64 s[6:7], s[26:27], 4
	v_lshlrev_b64 v[0:1], 4, v[0:1]
	s_or_b32 s4, s1, 1
	s_lshl_b64 s[2:3], s[2:3], 4
	s_add_u32 s1, s24, s6
	s_addc_u32 s6, s25, s7
	s_add_u32 s1, s1, s2
	s_addc_u32 s2, s6, s3
	v_add_co_u32 v0, s1, s1, v0
	s_delay_alu instid0(VALU_DEP_1) | instskip(SKIP_1) | instid1(VALU_DEP_3)
	v_add_co_ci_u32_e64 v1, s1, s2, v1, s1
	v_add_nc_u32_e32 v15, s13, v13
	v_add_co_u32 v4, s1, v0, 8
	s_delay_alu instid0(VALU_DEP_1)
	v_add_co_ci_u32_e64 v5, s1, 0, v1, s1
	v_mov_b32_e32 v0, v2
	v_cmp_gt_i32_e32 vcc_lo, s5, v12
	v_mov_b32_e32 v1, v3
	s_lshl_b64 s[6:7], s[28:29], 8
	s_mov_b32 s17, 0
	s_xor_b32 s18, s0, -1
	s_branch .LBB2_16
.LBB2_14:                               ;   in Loop: Header=BB2_16 Depth=1
	s_or_b32 exec_lo, exec_lo, s3
	global_load_b128 v[16:19], v[4:5], off offset:-8
	global_load_b64 v[8:9], v[8:9], off
	s_waitcnt vmcnt(1)
	v_mul_f64 v[20:21], v[6:7], v[18:19]
	s_waitcnt vmcnt(0)
	v_mul_f64 v[18:19], v[8:9], v[18:19]
	s_delay_alu instid0(VALU_DEP_2) | instskip(NEXT) | instid1(VALU_DEP_2)
	v_fma_f64 v[8:9], v[8:9], v[16:17], -v[20:21]
	v_fma_f64 v[6:7], v[6:7], v[16:17], v[18:19]
	s_delay_alu instid0(VALU_DEP_2) | instskip(NEXT) | instid1(VALU_DEP_2)
	v_add_f64 v[0:1], v[0:1], v[8:9]
	v_add_f64 v[2:3], v[2:3], v[6:7]
.LBB2_15:                               ;   in Loop: Header=BB2_16 Depth=1
	s_or_b32 exec_lo, exec_lo, s19
	v_add_nc_u32_e32 v14, 16, v14
	v_add_co_u32 v4, s2, v4, s6
	s_delay_alu instid0(VALU_DEP_1) | instskip(NEXT) | instid1(VALU_DEP_3)
	v_add_co_ci_u32_e64 v5, s2, s7, v5, s2
	v_cmp_le_i32_e64 s1, s5, v14
	s_delay_alu instid0(VALU_DEP_1) | instskip(NEXT) | instid1(SALU_CYCLE_1)
	s_or_b32 s17, s1, s17
	s_and_not1_b32 exec_lo, exec_lo, s17
	s_cbranch_execz .LBB2_19
.LBB2_16:                               ; =>This Inner Loop Header: Depth=1
	s_and_saveexec_b32 s19, vcc_lo
	s_cbranch_execz .LBB2_15
; %bb.17:                               ;   in Loop: Header=BB2_16 Depth=1
	v_cmp_le_i32_e64 s1, v12, v14
	v_cmp_ge_i32_e64 s2, v12, v14
	s_delay_alu instid0(VALU_DEP_2) | instskip(NEXT) | instid1(VALU_DEP_1)
	s_or_b32 s1, s1, s18
	s_or_b32 s2, s2, s0
	s_delay_alu instid0(SALU_CYCLE_1) | instskip(NEXT) | instid1(SALU_CYCLE_1)
	s_and_b32 s1, s1, s2
	v_cndmask_b32_e64 v9, v12, v14, s1
	v_cndmask_b32_e64 v8, v14, v12, s1
	s_delay_alu instid0(VALU_DEP_2) | instskip(SKIP_1) | instid1(VALU_DEP_1)
	v_sub_nc_u32_e32 v6, s4, v9
	v_add_nc_u32_e32 v7, 1, v9
	v_cndmask_b32_e64 v16, v6, v7, s0
	s_delay_alu instid0(VALU_DEP_1) | instskip(SKIP_1) | instid1(VALU_DEP_1)
	v_mad_i64_i32 v[6:7], null, v16, v9, 0
	v_cndmask_b32_e64 v9, v9, 0, s0
	v_sub_nc_u32_e32 v8, v8, v9
	s_delay_alu instid0(VALU_DEP_3) | instskip(NEXT) | instid1(VALU_DEP_2)
	v_lshrrev_b32_e32 v16, 31, v7
	v_ashrrev_i32_e32 v9, 31, v8
	s_delay_alu instid0(VALU_DEP_2) | instskip(NEXT) | instid1(VALU_DEP_1)
	v_add_co_u32 v6, s2, v6, v16
	v_add_co_ci_u32_e64 v7, s2, 0, v7, s2
	s_delay_alu instid0(VALU_DEP_3) | instskip(NEXT) | instid1(VALU_DEP_2)
	v_lshlrev_b64 v[8:9], 4, v[8:9]
	v_lshlrev_b64 v[6:7], 3, v[6:7]
	s_delay_alu instid0(VALU_DEP_1) | instskip(NEXT) | instid1(VALU_DEP_1)
	v_and_b32_e32 v6, -16, v6
	v_add_co_u32 v16, s3, s15, v6
	s_delay_alu instid0(VALU_DEP_1) | instskip(SKIP_1) | instid1(VALU_DEP_3)
	v_add_co_ci_u32_e64 v17, s3, s16, v7, s3
	v_mov_b32_e32 v6, 0
	v_add_co_u32 v8, s3, v16, v8
	v_mov_b32_e32 v7, 0
	s_delay_alu instid0(VALU_DEP_4)
	v_add_co_ci_u32_e64 v9, s3, v17, v9, s3
	s_mov_b32 s3, exec_lo
	v_cmpx_ne_u32_e64 v15, v14
	s_cbranch_execz .LBB2_14
; %bb.18:                               ;   in Loop: Header=BB2_16 Depth=1
	global_load_b64 v[6:7], v[8:9], off offset:8
	s_waitcnt vmcnt(0)
	v_xor_b32_e32 v16, 0x80000000, v7
	v_cndmask_b32_e64 v6, v6, v6, s1
	s_delay_alu instid0(VALU_DEP_2)
	v_cndmask_b32_e64 v7, v16, v7, s1
	s_branch .LBB2_14
.LBB2_19:
	s_or_b32 exec_lo, exec_lo, s17
.LBB2_20:
	s_delay_alu instid0(SALU_CYCLE_1) | instskip(SKIP_3) | instid1(VALU_DEP_3)
	s_or_b32 exec_lo, exec_lo, s14
	v_and_or_b32 v4, 0x1ffc0, v11, v13
	v_cmp_gt_u32_e32 vcc_lo, 64, v11
	v_cmp_gt_i32_e64 s0, s5, v12
                                        ; implicit-def: $vgpr8_vgpr9
	v_lshlrev_b32_e32 v4, 4, v4
	s_delay_alu instid0(VALU_DEP_2)
	s_and_b32 s1, vcc_lo, s0
	ds_store_b128 v4, v[0:3]
	s_waitcnt lgkmcnt(0)
	s_barrier
	buffer_gl0_inv
                                        ; implicit-def: $vgpr2_vgpr3
	s_and_saveexec_b32 s0, s1
	s_cbranch_execz .LBB2_26
; %bb.21:
	v_dual_mov_b32 v11, 0 :: v_dual_lshlrev_b32 v8, 4, v11
	v_lshlrev_b32_e32 v9, 4, v10
	v_or_b32_e32 v10, s13, v10
	s_ashr_i32 s3, s5, 31
	ds_load_b128 v[0:3], v8
	ds_load_b128 v[4:7], v9 offset:1024
	s_mov_b32 s2, s5
	s_delay_alu instid0(SALU_CYCLE_1)
	v_cmp_gt_i64_e32 vcc_lo, s[2:3], v[10:11]
	s_mov_b32 s2, s12
	s_waitcnt lgkmcnt(0)
	v_add_f64 v[0:1], v[0:1], v[4:5]
	v_add_f64 v[2:3], v[2:3], v[6:7]
	ds_store_b128 v8, v[0:3]
	ds_load_b128 v[4:7], v9 offset:2048
	s_waitcnt lgkmcnt(0)
	v_add_f64 v[0:1], v[0:1], v[4:5]
	v_add_f64 v[2:3], v[2:3], v[6:7]
	ds_store_b128 v8, v[0:3]
	ds_load_b128 v[4:7], v9 offset:3072
	;; [unrolled: 5-line block ×14, first 2 shown]
	s_waitcnt lgkmcnt(0)
	v_add_f64 v[4:5], v[0:1], v[4:5]
	v_add_f64 v[6:7], v[2:3], v[6:7]
                                        ; implicit-def: $vgpr2_vgpr3
	ds_store_b128 v8, v[4:7]
                                        ; implicit-def: $vgpr8_vgpr9
	s_and_saveexec_b32 s1, vcc_lo
	s_cbranch_execz .LBB2_25
; %bb.22:
	v_mul_f64 v[0:1], s[42:43], v[6:7]
	v_mul_f64 v[2:3], s[40:41], v[6:7]
	v_cmp_neq_f64_e64 s2, s[36:37], 0
	v_cmp_neq_f64_e64 s3, s[38:39], 0
	v_mad_u64_u32 v[8:9], null, v10, s10, 0
	v_fma_f64 v[0:1], s[40:41], v[4:5], -v[0:1]
	v_fma_f64 v[2:3], s[42:43], v[4:5], v[2:3]
	s_delay_alu instid0(VALU_DEP_3) | instskip(SKIP_1) | instid1(SALU_CYCLE_1)
	v_mov_b32_e32 v4, v9
	s_or_b32 s2, s2, s3
	s_and_not1_b32 vcc_lo, exec_lo, s2
	s_delay_alu instid0(VALU_DEP_1) | instskip(NEXT) | instid1(VALU_DEP_1)
	v_mad_u64_u32 v[5:6], null, v10, s11, v[4:5]
	v_mov_b32_e32 v9, v5
	s_cbranch_vccnz .LBB2_24
; %bb.23:
	s_delay_alu instid0(VALU_DEP_1) | instskip(NEXT) | instid1(VALU_DEP_1)
	v_lshlrev_b64 v[4:5], 4, v[8:9]
	v_add_co_u32 v4, vcc_lo, s8, v4
	s_delay_alu instid0(VALU_DEP_2) | instskip(SKIP_4) | instid1(VALU_DEP_2)
	v_add_co_ci_u32_e32 v5, vcc_lo, s9, v5, vcc_lo
	global_load_b128 v[4:7], v[4:5], off
	s_waitcnt vmcnt(0)
	v_mul_f64 v[10:11], s[38:39], v[6:7]
	v_mul_f64 v[6:7], s[36:37], v[6:7]
	v_fma_f64 v[10:11], s[36:37], v[4:5], -v[10:11]
	s_delay_alu instid0(VALU_DEP_2) | instskip(NEXT) | instid1(VALU_DEP_2)
	v_fma_f64 v[4:5], s[38:39], v[4:5], v[6:7]
	v_add_f64 v[0:1], v[0:1], v[10:11]
	s_delay_alu instid0(VALU_DEP_2)
	v_add_f64 v[2:3], v[2:3], v[4:5]
.LBB2_24:
	s_or_b32 s2, s12, exec_lo
.LBB2_25:
	s_or_b32 exec_lo, exec_lo, s1
	s_delay_alu instid0(SALU_CYCLE_1) | instskip(SKIP_1) | instid1(SALU_CYCLE_1)
	s_and_not1_b32 s1, s12, exec_lo
	s_and_b32 s2, s2, exec_lo
	s_or_b32 s12, s1, s2
.LBB2_26:
	s_or_b32 exec_lo, exec_lo, s0
.LBB2_27:
	s_and_saveexec_b32 s0, s12
	s_cbranch_execz .LBB2_29
; %bb.28:
	v_lshlrev_b64 v[4:5], 4, v[8:9]
	s_delay_alu instid0(VALU_DEP_1) | instskip(NEXT) | instid1(VALU_DEP_2)
	v_add_co_u32 v4, vcc_lo, s8, v4
	v_add_co_ci_u32_e32 v5, vcc_lo, s9, v5, vcc_lo
	global_store_b128 v[4:5], v[0:3], off
.LBB2_29:
	s_nop 0
	s_sendmsg sendmsg(MSG_DEALLOC_VGPRS)
	s_endpgm
	.section	.rodata,"a",@progbits
	.p2align	6, 0x0
	.amdhsa_kernel _ZL19rocblas_hpmv_kernelILi64ELi16EPK19rocblas_complex_numIdES3_PS1_EvbiT1_T2_llS6_lllS5_T3_llli
		.amdhsa_group_segment_fixed_size 16384
		.amdhsa_private_segment_fixed_size 0
		.amdhsa_kernarg_size 116
		.amdhsa_user_sgpr_count 14
		.amdhsa_user_sgpr_dispatch_ptr 0
		.amdhsa_user_sgpr_queue_ptr 0
		.amdhsa_user_sgpr_kernarg_segment_ptr 1
		.amdhsa_user_sgpr_dispatch_id 0
		.amdhsa_user_sgpr_private_segment_size 0
		.amdhsa_wavefront_size32 1
		.amdhsa_uses_dynamic_stack 0
		.amdhsa_enable_private_segment 0
		.amdhsa_system_sgpr_workgroup_id_x 1
		.amdhsa_system_sgpr_workgroup_id_y 0
		.amdhsa_system_sgpr_workgroup_id_z 1
		.amdhsa_system_sgpr_workgroup_info 0
		.amdhsa_system_vgpr_workitem_id 1
		.amdhsa_next_free_vgpr 22
		.amdhsa_next_free_sgpr 44
		.amdhsa_reserve_vcc 1
		.amdhsa_float_round_mode_32 0
		.amdhsa_float_round_mode_16_64 0
		.amdhsa_float_denorm_mode_32 3
		.amdhsa_float_denorm_mode_16_64 3
		.amdhsa_dx10_clamp 1
		.amdhsa_ieee_mode 1
		.amdhsa_fp16_overflow 0
		.amdhsa_workgroup_processor_mode 1
		.amdhsa_memory_ordered 1
		.amdhsa_forward_progress 0
		.amdhsa_shared_vgpr_count 0
		.amdhsa_exception_fp_ieee_invalid_op 0
		.amdhsa_exception_fp_denorm_src 0
		.amdhsa_exception_fp_ieee_div_zero 0
		.amdhsa_exception_fp_ieee_overflow 0
		.amdhsa_exception_fp_ieee_underflow 0
		.amdhsa_exception_fp_ieee_inexact 0
		.amdhsa_exception_int_div_zero 0
	.end_amdhsa_kernel
	.section	.text._ZL19rocblas_hpmv_kernelILi64ELi16EPK19rocblas_complex_numIdES3_PS1_EvbiT1_T2_llS6_lllS5_T3_llli,"axG",@progbits,_ZL19rocblas_hpmv_kernelILi64ELi16EPK19rocblas_complex_numIdES3_PS1_EvbiT1_T2_llS6_lllS5_T3_llli,comdat
.Lfunc_end2:
	.size	_ZL19rocblas_hpmv_kernelILi64ELi16EPK19rocblas_complex_numIdES3_PS1_EvbiT1_T2_llS6_lllS5_T3_llli, .Lfunc_end2-_ZL19rocblas_hpmv_kernelILi64ELi16EPK19rocblas_complex_numIdES3_PS1_EvbiT1_T2_llS6_lllS5_T3_llli
                                        ; -- End function
	.section	.AMDGPU.csdata,"",@progbits
; Kernel info:
; codeLenInByte = 2132
; NumSgprs: 46
; NumVgprs: 22
; ScratchSize: 0
; MemoryBound: 0
; FloatMode: 240
; IeeeMode: 1
; LDSByteSize: 16384 bytes/workgroup (compile time only)
; SGPRBlocks: 5
; VGPRBlocks: 2
; NumSGPRsForWavesPerEU: 46
; NumVGPRsForWavesPerEU: 22
; Occupancy: 16
; WaveLimiterHint : 0
; COMPUTE_PGM_RSRC2:SCRATCH_EN: 0
; COMPUTE_PGM_RSRC2:USER_SGPR: 14
; COMPUTE_PGM_RSRC2:TRAP_HANDLER: 0
; COMPUTE_PGM_RSRC2:TGID_X_EN: 1
; COMPUTE_PGM_RSRC2:TGID_Y_EN: 0
; COMPUTE_PGM_RSRC2:TGID_Z_EN: 1
; COMPUTE_PGM_RSRC2:TIDIG_COMP_CNT: 1
	.section	.text._ZL19rocblas_hpmv_kernelILi64ELi16E19rocblas_complex_numIdEPKS1_PS1_EvbiT1_T2_llS6_lllS5_T3_llli,"axG",@progbits,_ZL19rocblas_hpmv_kernelILi64ELi16E19rocblas_complex_numIdEPKS1_PS1_EvbiT1_T2_llS6_lllS5_T3_llli,comdat
	.globl	_ZL19rocblas_hpmv_kernelILi64ELi16E19rocblas_complex_numIdEPKS1_PS1_EvbiT1_T2_llS6_lllS5_T3_llli ; -- Begin function _ZL19rocblas_hpmv_kernelILi64ELi16E19rocblas_complex_numIdEPKS1_PS1_EvbiT1_T2_llS6_lllS5_T3_llli
	.p2align	8
	.type	_ZL19rocblas_hpmv_kernelILi64ELi16E19rocblas_complex_numIdEPKS1_PS1_EvbiT1_T2_llS6_lllS5_T3_llli,@function
_ZL19rocblas_hpmv_kernelILi64ELi16E19rocblas_complex_numIdEPKS1_PS1_EvbiT1_T2_llS6_lllS5_T3_llli: ; @_ZL19rocblas_hpmv_kernelILi64ELi16E19rocblas_complex_numIdEPKS1_PS1_EvbiT1_T2_llS6_lllS5_T3_llli
; %bb.0:
	s_clause 0x1
	s_load_b512 s[16:31], s[0:1], 0x8
	s_load_b256 s[4:11], s[0:1], 0x48
	s_waitcnt lgkmcnt(0)
	v_cmp_neq_f64_e64 s2, s[16:17], 0
	v_cmp_neq_f64_e64 s3, s[18:19], 0
	s_delay_alu instid0(VALU_DEP_1)
	s_or_b32 s2, s2, s3
	s_mov_b32 s3, -1
	s_and_b32 vcc_lo, exec_lo, s2
	s_cbranch_vccnz .LBB3_2
; %bb.1:
	v_cmp_neq_f64_e64 s3, s[6:7], 1.0
	v_cmp_neq_f64_e64 s12, s[8:9], 0
	s_delay_alu instid0(VALU_DEP_1)
	s_or_b32 s3, s3, s12
.LBB3_2:
	s_delay_alu instid0(SALU_CYCLE_1)
	s_and_not1_b32 vcc_lo, exec_lo, s3
	s_cbranch_vccnz .LBB3_29
; %bb.3:
	s_clause 0x2
	s_load_b64 s[34:35], s[0:1], 0x78
	s_load_b128 s[36:39], s[0:1], 0x68
	s_load_b64 s[12:13], s[0:1], 0x0
	v_and_b32_e32 v10, 0x3ff, v0
	s_xor_b32 s2, s2, -1
	v_bfe_u32 v0, v0, 10, 10
	s_delay_alu instid0(VALU_DEP_2) | instskip(NEXT) | instid1(VALU_DEP_2)
	v_and_b32_e32 v13, 63, v10
	v_lshl_add_u32 v11, v0, 6, v10
	s_waitcnt lgkmcnt(0)
	s_mul_i32 s1, s15, s35
	s_mul_hi_u32 s3, s15, s34
	s_mul_i32 s0, s15, s34
	s_add_i32 s1, s3, s1
	s_delay_alu instid0(SALU_CYCLE_1) | instskip(NEXT) | instid1(SALU_CYCLE_1)
	s_lshl_b64 s[0:1], s[0:1], 4
	s_add_u32 s3, s10, s0
	s_addc_u32 s11, s11, s1
	s_lshl_b64 s[0:1], s[36:37], 4
	s_delay_alu instid0(SALU_CYCLE_1)
	s_add_u32 s10, s3, s0
	s_addc_u32 s11, s11, s1
	s_lshl_b32 s33, s14, 6
	v_cmp_gt_u32_e64 s1, 64, v11
	v_or_b32_e32 v12, s33, v13
	s_and_not1_b32 vcc_lo, exec_lo, s2
	s_mov_b32 s14, 0
	s_delay_alu instid0(VALU_DEP_1)
	v_cmp_gt_i32_e64 s0, s13, v12
	s_cbranch_vccnz .LBB3_10
; %bb.4:
	s_delay_alu instid0(VALU_DEP_1)
	s_and_b32 s2, s1, s0
	s_mov_b32 s0, 0
                                        ; implicit-def: $vgpr2_vgpr3
                                        ; implicit-def: $vgpr8_vgpr9
	s_and_saveexec_b32 s1, s2
	s_cbranch_execz .LBB3_11
; %bb.5:
	v_or_b32_e32 v0, s33, v10
	s_mov_b32 s3, 0
	s_mov_b32 s2, exec_lo
                                        ; implicit-def: $vgpr2_vgpr3
                                        ; implicit-def: $vgpr8_vgpr9
	s_delay_alu instid0(VALU_DEP_1)
	v_cmpx_gt_i32_e64 s13, v0
	s_cbranch_execz .LBB3_9
; %bb.6:
	v_cmp_neq_f64_e64 s3, s[6:7], 0
	v_cmp_neq_f64_e64 s14, s[8:9], 0
	v_ashrrev_i32_e32 v1, 31, v0
	v_mul_lo_u32 v4, v0, s39
	v_mad_u64_u32 v[8:9], null, v0, s38, 0
	v_mov_b32_e32 v2, 0
	s_delay_alu instid0(VALU_DEP_4) | instskip(SKIP_1) | instid1(VALU_DEP_2)
	v_mul_lo_u32 v0, v1, s38
	v_mov_b32_e32 v3, 0
	v_add3_u32 v9, v9, v4, v0
	s_delay_alu instid0(VALU_DEP_2) | instskip(SKIP_1) | instid1(SALU_CYCLE_1)
	v_dual_mov_b32 v0, v2 :: v_dual_mov_b32 v1, v3
	s_or_b32 s3, s3, s14
	s_and_not1_b32 vcc_lo, exec_lo, s3
	s_cbranch_vccnz .LBB3_8
; %bb.7:
	v_lshlrev_b64 v[0:1], 4, v[8:9]
	s_delay_alu instid0(VALU_DEP_1) | instskip(NEXT) | instid1(VALU_DEP_2)
	v_add_co_u32 v0, vcc_lo, s10, v0
	v_add_co_ci_u32_e32 v1, vcc_lo, s11, v1, vcc_lo
	global_load_b128 v[2:5], v[0:1], off
	s_waitcnt vmcnt(0)
	v_mul_f64 v[0:1], s[8:9], v[4:5]
	v_mul_f64 v[4:5], s[6:7], v[4:5]
	s_delay_alu instid0(VALU_DEP_2) | instskip(NEXT) | instid1(VALU_DEP_2)
	v_fma_f64 v[0:1], s[6:7], v[2:3], -v[0:1]
	v_fma_f64 v[2:3], s[8:9], v[2:3], v[4:5]
.LBB3_8:
	s_mov_b32 s3, exec_lo
.LBB3_9:
	s_or_b32 exec_lo, exec_lo, s2
	s_delay_alu instid0(SALU_CYCLE_1) | instskip(SKIP_1) | instid1(SALU_CYCLE_1)
	s_and_b32 s14, s3, exec_lo
	s_or_b32 exec_lo, exec_lo, s1
	s_and_b32 vcc_lo, exec_lo, s0
	s_cbranch_vccnz .LBB3_12
	s_branch .LBB3_27
.LBB3_10:
                                        ; implicit-def: $vgpr2_vgpr3
                                        ; implicit-def: $vgpr8_vgpr9
	s_cbranch_execnz .LBB3_12
	s_branch .LBB3_27
.LBB3_11:
	s_or_b32 exec_lo, exec_lo, s1
	s_delay_alu instid0(SALU_CYCLE_1)
	s_and_b32 vcc_lo, exec_lo, s0
	s_cbranch_vccz .LBB3_27
.LBB3_12:
	v_mov_b32_e32 v2, 0
	v_mov_b32_e32 v3, 0
	v_lshrrev_b32_e32 v14, 6, v11
	s_delay_alu instid0(VALU_DEP_3) | instskip(SKIP_1) | instid1(VALU_DEP_3)
	v_mov_b32_e32 v0, v2
	s_mov_b32 s34, exec_lo
	v_mov_b32_e32 v1, v3
	s_delay_alu instid0(VALU_DEP_3)
	v_cmpx_gt_i32_e64 s13, v14
	s_cbranch_execz .LBB3_20
; %bb.13:
	v_lshrrev_b32_e32 v2, 6, v11
	s_mul_i32 s1, s15, s25
	s_mul_hi_u32 s2, s15, s24
	s_mul_i32 s0, s15, s24
	s_add_i32 s1, s2, s1
	v_mad_u64_u32 v[0:1], null, s30, v2, 0
	s_lshl_b64 s[0:1], s[0:1], 4
	s_mul_i32 s3, s5, s15
	s_add_u32 s20, s20, s0
	s_addc_u32 s21, s21, s1
	s_lshl_b64 s[0:1], s[22:23], 4
	s_mul_hi_u32 s5, s4, s15
	s_delay_alu instid0(VALU_DEP_1)
	v_mad_u64_u32 v[4:5], null, s31, v2, v[1:2]
	s_mul_i32 s2, s4, s15
	s_add_u32 s15, s20, s0
	v_mov_b32_e32 v2, 0
	s_addc_u32 s20, s21, s1
	s_bitcmp1_b32 s12, 0
	v_mov_b32_e32 v3, 0
	s_delay_alu instid0(VALU_DEP_3)
	v_mov_b32_e32 v1, v4
	s_cselect_b32 s0, -1, 0
	s_lshl_b32 s1, s13, 1
	s_add_i32 s3, s5, s3
	s_lshl_b64 s[4:5], s[28:29], 4
	v_lshlrev_b64 v[0:1], 4, v[0:1]
	s_or_b32 s12, s1, 1
	s_lshl_b64 s[2:3], s[2:3], 4
	s_add_u32 s1, s26, s4
	s_addc_u32 s4, s27, s5
	s_add_u32 s1, s1, s2
	s_addc_u32 s2, s4, s3
	v_add_co_u32 v0, s1, s1, v0
	s_delay_alu instid0(VALU_DEP_1) | instskip(SKIP_1) | instid1(VALU_DEP_3)
	v_add_co_ci_u32_e64 v1, s1, s2, v1, s1
	v_add_nc_u32_e32 v15, s33, v13
	v_add_co_u32 v4, s1, v0, 8
	s_delay_alu instid0(VALU_DEP_1)
	v_add_co_ci_u32_e64 v5, s1, 0, v1, s1
	v_mov_b32_e32 v0, v2
	v_cmp_gt_i32_e32 vcc_lo, s13, v12
	v_mov_b32_e32 v1, v3
	s_lshl_b64 s[4:5], s[30:31], 8
	s_mov_b32 s21, 0
	s_xor_b32 s22, s0, -1
	s_branch .LBB3_16
.LBB3_14:                               ;   in Loop: Header=BB3_16 Depth=1
	s_or_b32 exec_lo, exec_lo, s3
	global_load_b128 v[16:19], v[4:5], off offset:-8
	global_load_b64 v[8:9], v[8:9], off
	s_waitcnt vmcnt(1)
	v_mul_f64 v[20:21], v[6:7], v[18:19]
	s_waitcnt vmcnt(0)
	v_mul_f64 v[18:19], v[8:9], v[18:19]
	s_delay_alu instid0(VALU_DEP_2) | instskip(NEXT) | instid1(VALU_DEP_2)
	v_fma_f64 v[8:9], v[8:9], v[16:17], -v[20:21]
	v_fma_f64 v[6:7], v[6:7], v[16:17], v[18:19]
	s_delay_alu instid0(VALU_DEP_2) | instskip(NEXT) | instid1(VALU_DEP_2)
	v_add_f64 v[0:1], v[0:1], v[8:9]
	v_add_f64 v[2:3], v[2:3], v[6:7]
.LBB3_15:                               ;   in Loop: Header=BB3_16 Depth=1
	s_or_b32 exec_lo, exec_lo, s23
	v_add_nc_u32_e32 v14, 16, v14
	v_add_co_u32 v4, s2, v4, s4
	s_delay_alu instid0(VALU_DEP_1) | instskip(NEXT) | instid1(VALU_DEP_3)
	v_add_co_ci_u32_e64 v5, s2, s5, v5, s2
	v_cmp_le_i32_e64 s1, s13, v14
	s_delay_alu instid0(VALU_DEP_1) | instskip(NEXT) | instid1(SALU_CYCLE_1)
	s_or_b32 s21, s1, s21
	s_and_not1_b32 exec_lo, exec_lo, s21
	s_cbranch_execz .LBB3_19
.LBB3_16:                               ; =>This Inner Loop Header: Depth=1
	s_and_saveexec_b32 s23, vcc_lo
	s_cbranch_execz .LBB3_15
; %bb.17:                               ;   in Loop: Header=BB3_16 Depth=1
	v_cmp_le_i32_e64 s1, v12, v14
	v_cmp_ge_i32_e64 s2, v12, v14
	s_delay_alu instid0(VALU_DEP_2) | instskip(NEXT) | instid1(VALU_DEP_1)
	s_or_b32 s1, s1, s22
	s_or_b32 s2, s2, s0
	s_delay_alu instid0(SALU_CYCLE_1) | instskip(NEXT) | instid1(SALU_CYCLE_1)
	s_and_b32 s1, s1, s2
	v_cndmask_b32_e64 v9, v12, v14, s1
	v_cndmask_b32_e64 v8, v14, v12, s1
	s_delay_alu instid0(VALU_DEP_2) | instskip(SKIP_1) | instid1(VALU_DEP_1)
	v_sub_nc_u32_e32 v6, s12, v9
	v_add_nc_u32_e32 v7, 1, v9
	v_cndmask_b32_e64 v16, v6, v7, s0
	s_delay_alu instid0(VALU_DEP_1) | instskip(SKIP_1) | instid1(VALU_DEP_1)
	v_mad_i64_i32 v[6:7], null, v16, v9, 0
	v_cndmask_b32_e64 v9, v9, 0, s0
	v_sub_nc_u32_e32 v8, v8, v9
	s_delay_alu instid0(VALU_DEP_3) | instskip(NEXT) | instid1(VALU_DEP_2)
	v_lshrrev_b32_e32 v16, 31, v7
	v_ashrrev_i32_e32 v9, 31, v8
	s_delay_alu instid0(VALU_DEP_2) | instskip(NEXT) | instid1(VALU_DEP_1)
	v_add_co_u32 v6, s2, v6, v16
	v_add_co_ci_u32_e64 v7, s2, 0, v7, s2
	s_delay_alu instid0(VALU_DEP_3) | instskip(NEXT) | instid1(VALU_DEP_2)
	v_lshlrev_b64 v[8:9], 4, v[8:9]
	v_lshlrev_b64 v[6:7], 3, v[6:7]
	s_delay_alu instid0(VALU_DEP_1) | instskip(NEXT) | instid1(VALU_DEP_1)
	v_and_b32_e32 v6, -16, v6
	v_add_co_u32 v16, s3, s15, v6
	s_delay_alu instid0(VALU_DEP_1) | instskip(SKIP_1) | instid1(VALU_DEP_3)
	v_add_co_ci_u32_e64 v17, s3, s20, v7, s3
	v_mov_b32_e32 v6, 0
	v_add_co_u32 v8, s3, v16, v8
	v_mov_b32_e32 v7, 0
	s_delay_alu instid0(VALU_DEP_4)
	v_add_co_ci_u32_e64 v9, s3, v17, v9, s3
	s_mov_b32 s3, exec_lo
	v_cmpx_ne_u32_e64 v15, v14
	s_cbranch_execz .LBB3_14
; %bb.18:                               ;   in Loop: Header=BB3_16 Depth=1
	global_load_b64 v[6:7], v[8:9], off offset:8
	s_waitcnt vmcnt(0)
	v_xor_b32_e32 v16, 0x80000000, v7
	v_cndmask_b32_e64 v6, v6, v6, s1
	s_delay_alu instid0(VALU_DEP_2)
	v_cndmask_b32_e64 v7, v16, v7, s1
	s_branch .LBB3_14
.LBB3_19:
	s_or_b32 exec_lo, exec_lo, s21
.LBB3_20:
	s_delay_alu instid0(SALU_CYCLE_1) | instskip(SKIP_3) | instid1(VALU_DEP_3)
	s_or_b32 exec_lo, exec_lo, s34
	v_and_or_b32 v4, 0x1ffc0, v11, v13
	v_cmp_gt_u32_e32 vcc_lo, 64, v11
	v_cmp_gt_i32_e64 s0, s13, v12
                                        ; implicit-def: $vgpr8_vgpr9
	v_lshlrev_b32_e32 v4, 4, v4
	s_delay_alu instid0(VALU_DEP_2)
	s_and_b32 s1, vcc_lo, s0
	ds_store_b128 v4, v[0:3]
	s_waitcnt lgkmcnt(0)
	s_barrier
	buffer_gl0_inv
                                        ; implicit-def: $vgpr2_vgpr3
	s_and_saveexec_b32 s0, s1
	s_cbranch_execz .LBB3_26
; %bb.21:
	v_dual_mov_b32 v11, 0 :: v_dual_lshlrev_b32 v8, 4, v11
	v_lshlrev_b32_e32 v9, 4, v10
	v_or_b32_e32 v10, s33, v10
	s_ashr_i32 s3, s13, 31
	ds_load_b128 v[0:3], v8
	ds_load_b128 v[4:7], v9 offset:1024
	s_mov_b32 s2, s13
	s_delay_alu instid0(SALU_CYCLE_1)
	v_cmp_gt_i64_e32 vcc_lo, s[2:3], v[10:11]
	s_mov_b32 s2, s14
	s_waitcnt lgkmcnt(0)
	v_add_f64 v[0:1], v[0:1], v[4:5]
	v_add_f64 v[2:3], v[2:3], v[6:7]
	ds_store_b128 v8, v[0:3]
	ds_load_b128 v[4:7], v9 offset:2048
	s_waitcnt lgkmcnt(0)
	v_add_f64 v[0:1], v[0:1], v[4:5]
	v_add_f64 v[2:3], v[2:3], v[6:7]
	ds_store_b128 v8, v[0:3]
	ds_load_b128 v[4:7], v9 offset:3072
	;; [unrolled: 5-line block ×14, first 2 shown]
	s_waitcnt lgkmcnt(0)
	v_add_f64 v[4:5], v[0:1], v[4:5]
	v_add_f64 v[6:7], v[2:3], v[6:7]
                                        ; implicit-def: $vgpr2_vgpr3
	ds_store_b128 v8, v[4:7]
                                        ; implicit-def: $vgpr8_vgpr9
	s_and_saveexec_b32 s1, vcc_lo
	s_cbranch_execz .LBB3_25
; %bb.22:
	v_mul_f64 v[0:1], s[18:19], v[6:7]
	v_mul_f64 v[2:3], s[16:17], v[6:7]
	v_cmp_neq_f64_e64 s2, s[6:7], 0
	v_cmp_neq_f64_e64 s3, s[8:9], 0
	v_mad_u64_u32 v[8:9], null, v10, s38, 0
	v_fma_f64 v[0:1], s[16:17], v[4:5], -v[0:1]
	v_fma_f64 v[2:3], s[18:19], v[4:5], v[2:3]
	s_delay_alu instid0(VALU_DEP_3) | instskip(SKIP_1) | instid1(SALU_CYCLE_1)
	v_mov_b32_e32 v4, v9
	s_or_b32 s2, s2, s3
	s_and_not1_b32 vcc_lo, exec_lo, s2
	s_delay_alu instid0(VALU_DEP_1) | instskip(NEXT) | instid1(VALU_DEP_1)
	v_mad_u64_u32 v[5:6], null, v10, s39, v[4:5]
	v_mov_b32_e32 v9, v5
	s_cbranch_vccnz .LBB3_24
; %bb.23:
	s_delay_alu instid0(VALU_DEP_1) | instskip(NEXT) | instid1(VALU_DEP_1)
	v_lshlrev_b64 v[4:5], 4, v[8:9]
	v_add_co_u32 v4, vcc_lo, s10, v4
	s_delay_alu instid0(VALU_DEP_2) | instskip(SKIP_4) | instid1(VALU_DEP_2)
	v_add_co_ci_u32_e32 v5, vcc_lo, s11, v5, vcc_lo
	global_load_b128 v[4:7], v[4:5], off
	s_waitcnt vmcnt(0)
	v_mul_f64 v[10:11], s[8:9], v[6:7]
	v_mul_f64 v[6:7], s[6:7], v[6:7]
	v_fma_f64 v[10:11], s[6:7], v[4:5], -v[10:11]
	s_delay_alu instid0(VALU_DEP_2) | instskip(NEXT) | instid1(VALU_DEP_2)
	v_fma_f64 v[4:5], s[8:9], v[4:5], v[6:7]
	v_add_f64 v[0:1], v[0:1], v[10:11]
	s_delay_alu instid0(VALU_DEP_2)
	v_add_f64 v[2:3], v[2:3], v[4:5]
.LBB3_24:
	s_or_b32 s2, s14, exec_lo
.LBB3_25:
	s_or_b32 exec_lo, exec_lo, s1
	s_delay_alu instid0(SALU_CYCLE_1) | instskip(SKIP_1) | instid1(SALU_CYCLE_1)
	s_and_not1_b32 s1, s14, exec_lo
	s_and_b32 s2, s2, exec_lo
	s_or_b32 s14, s1, s2
.LBB3_26:
	s_or_b32 exec_lo, exec_lo, s0
.LBB3_27:
	s_and_saveexec_b32 s0, s14
	s_cbranch_execz .LBB3_29
; %bb.28:
	v_lshlrev_b64 v[4:5], 4, v[8:9]
	s_delay_alu instid0(VALU_DEP_1) | instskip(NEXT) | instid1(VALU_DEP_2)
	v_add_co_u32 v4, vcc_lo, s10, v4
	v_add_co_ci_u32_e32 v5, vcc_lo, s11, v5, vcc_lo
	global_store_b128 v[4:5], v[0:3], off
.LBB3_29:
	s_nop 0
	s_sendmsg sendmsg(MSG_DEALLOC_VGPRS)
	s_endpgm
	.section	.rodata,"a",@progbits
	.p2align	6, 0x0
	.amdhsa_kernel _ZL19rocblas_hpmv_kernelILi64ELi16E19rocblas_complex_numIdEPKS1_PS1_EvbiT1_T2_llS6_lllS5_T3_llli
		.amdhsa_group_segment_fixed_size 16384
		.amdhsa_private_segment_fixed_size 0
		.amdhsa_kernarg_size 132
		.amdhsa_user_sgpr_count 14
		.amdhsa_user_sgpr_dispatch_ptr 0
		.amdhsa_user_sgpr_queue_ptr 0
		.amdhsa_user_sgpr_kernarg_segment_ptr 1
		.amdhsa_user_sgpr_dispatch_id 0
		.amdhsa_user_sgpr_private_segment_size 0
		.amdhsa_wavefront_size32 1
		.amdhsa_uses_dynamic_stack 0
		.amdhsa_enable_private_segment 0
		.amdhsa_system_sgpr_workgroup_id_x 1
		.amdhsa_system_sgpr_workgroup_id_y 0
		.amdhsa_system_sgpr_workgroup_id_z 1
		.amdhsa_system_sgpr_workgroup_info 0
		.amdhsa_system_vgpr_workitem_id 1
		.amdhsa_next_free_vgpr 22
		.amdhsa_next_free_sgpr 40
		.amdhsa_reserve_vcc 1
		.amdhsa_float_round_mode_32 0
		.amdhsa_float_round_mode_16_64 0
		.amdhsa_float_denorm_mode_32 3
		.amdhsa_float_denorm_mode_16_64 3
		.amdhsa_dx10_clamp 1
		.amdhsa_ieee_mode 1
		.amdhsa_fp16_overflow 0
		.amdhsa_workgroup_processor_mode 1
		.amdhsa_memory_ordered 1
		.amdhsa_forward_progress 0
		.amdhsa_shared_vgpr_count 0
		.amdhsa_exception_fp_ieee_invalid_op 0
		.amdhsa_exception_fp_denorm_src 0
		.amdhsa_exception_fp_ieee_div_zero 0
		.amdhsa_exception_fp_ieee_overflow 0
		.amdhsa_exception_fp_ieee_underflow 0
		.amdhsa_exception_fp_ieee_inexact 0
		.amdhsa_exception_int_div_zero 0
	.end_amdhsa_kernel
	.section	.text._ZL19rocblas_hpmv_kernelILi64ELi16E19rocblas_complex_numIdEPKS1_PS1_EvbiT1_T2_llS6_lllS5_T3_llli,"axG",@progbits,_ZL19rocblas_hpmv_kernelILi64ELi16E19rocblas_complex_numIdEPKS1_PS1_EvbiT1_T2_llS6_lllS5_T3_llli,comdat
.Lfunc_end3:
	.size	_ZL19rocblas_hpmv_kernelILi64ELi16E19rocblas_complex_numIdEPKS1_PS1_EvbiT1_T2_llS6_lllS5_T3_llli, .Lfunc_end3-_ZL19rocblas_hpmv_kernelILi64ELi16E19rocblas_complex_numIdEPKS1_PS1_EvbiT1_T2_llS6_lllS5_T3_llli
                                        ; -- End function
	.section	.AMDGPU.csdata,"",@progbits
; Kernel info:
; codeLenInByte = 2124
; NumSgprs: 42
; NumVgprs: 22
; ScratchSize: 0
; MemoryBound: 0
; FloatMode: 240
; IeeeMode: 1
; LDSByteSize: 16384 bytes/workgroup (compile time only)
; SGPRBlocks: 5
; VGPRBlocks: 2
; NumSGPRsForWavesPerEU: 42
; NumVGPRsForWavesPerEU: 22
; Occupancy: 16
; WaveLimiterHint : 0
; COMPUTE_PGM_RSRC2:SCRATCH_EN: 0
; COMPUTE_PGM_RSRC2:USER_SGPR: 14
; COMPUTE_PGM_RSRC2:TRAP_HANDLER: 0
; COMPUTE_PGM_RSRC2:TGID_X_EN: 1
; COMPUTE_PGM_RSRC2:TGID_Y_EN: 0
; COMPUTE_PGM_RSRC2:TGID_Z_EN: 1
; COMPUTE_PGM_RSRC2:TIDIG_COMP_CNT: 1
	.section	.text._ZL19rocblas_hpmv_kernelILi64ELi16EPK19rocblas_complex_numIfEPKS3_PKPS1_EvbiT1_T2_llSA_lllS9_T3_llli,"axG",@progbits,_ZL19rocblas_hpmv_kernelILi64ELi16EPK19rocblas_complex_numIfEPKS3_PKPS1_EvbiT1_T2_llSA_lllS9_T3_llli,comdat
	.globl	_ZL19rocblas_hpmv_kernelILi64ELi16EPK19rocblas_complex_numIfEPKS3_PKPS1_EvbiT1_T2_llSA_lllS9_T3_llli ; -- Begin function _ZL19rocblas_hpmv_kernelILi64ELi16EPK19rocblas_complex_numIfEPKS3_PKPS1_EvbiT1_T2_llSA_lllS9_T3_llli
	.p2align	8
	.type	_ZL19rocblas_hpmv_kernelILi64ELi16EPK19rocblas_complex_numIfEPKS3_PKPS1_EvbiT1_T2_llSA_lllS9_T3_llli,@function
_ZL19rocblas_hpmv_kernelILi64ELi16EPK19rocblas_complex_numIfEPKS3_PKPS1_EvbiT1_T2_llSA_lllS9_T3_llli: ; @_ZL19rocblas_hpmv_kernelILi64ELi16EPK19rocblas_complex_numIfEPKS3_PKPS1_EvbiT1_T2_llSA_lllS9_T3_llli
; %bb.0:
	s_clause 0x1
	s_load_b128 s[16:19], s[0:1], 0x8
	s_load_b256 s[4:11], s[0:1], 0x48
	s_mov_b32 s24, s15
	s_waitcnt lgkmcnt(0)
	s_load_b64 s[12:13], s[16:17], 0x0
	s_load_b64 s[4:5], s[4:5], 0x0
	s_waitcnt lgkmcnt(0)
	v_cmp_neq_f32_e64 s2, s12, 0
	v_cmp_neq_f32_e64 s3, s13, 0
	s_delay_alu instid0(VALU_DEP_1) | instskip(NEXT) | instid1(SALU_CYCLE_1)
	s_or_b32 s2, s2, s3
	s_and_b32 vcc_lo, exec_lo, s2
	s_mov_b32 s2, -1
	s_cbranch_vccnz .LBB4_2
; %bb.1:
	v_cmp_neq_f32_e64 s2, s4, 1.0
	v_cmp_neq_f32_e64 s3, s5, 0
	s_delay_alu instid0(VALU_DEP_1)
	s_or_b32 s2, s2, s3
.LBB4_2:
	s_delay_alu instid0(SALU_CYCLE_1)
	s_and_not1_b32 vcc_lo, exec_lo, s2
	s_cbranch_vccnz .LBB4_30
; %bb.3:
	s_or_b32 s2, s12, s13
	s_mov_b32 s25, 0
	s_bitset0_b32 s2, 31
	s_delay_alu instid0(SALU_CYCLE_1)
	s_cmp_lg_u32 s2, 0
	s_cselect_b32 s15, -1, 0
	s_cmp_eq_u32 s2, 0
	s_cselect_b32 s26, -1, 0
	s_and_b32 vcc_lo, exec_lo, s15
	s_cbranch_vccnz .LBB4_5
; %bb.4:
	s_mov_b64 s[20:21], 0
	s_and_not1_b32 vcc_lo, exec_lo, s25
	s_cbranch_vccz .LBB4_6
	s_branch .LBB4_7
.LBB4_5:
	s_mov_b32 s25, -1
                                        ; implicit-def: $sgpr20_sgpr21
.LBB4_6:
	s_mov_b32 s25, 0
	s_load_b64 s[16:17], s[0:1], 0x18
	s_lshl_b64 s[2:3], s[24:25], 3
	s_delay_alu instid0(SALU_CYCLE_1) | instskip(SKIP_4) | instid1(SALU_CYCLE_1)
	s_add_u32 s2, s18, s2
	s_addc_u32 s3, s19, s3
	s_load_b64 s[2:3], s[2:3], 0x0
	s_waitcnt lgkmcnt(0)
	s_lshl_b64 s[16:17], s[16:17], 3
	s_add_u32 s20, s2, s16
	s_addc_u32 s21, s3, s17
.LBB4_7:
	s_clause 0x1
	s_load_b128 s[16:19], s[0:1], 0x28
	s_load_b64 s[2:3], s[0:1], 0x38
	s_and_not1_b32 vcc_lo, exec_lo, s15
	s_mov_b64 s[22:23], 0
	s_cbranch_vccnz .LBB4_9
; %bb.8:
	s_lshl_b64 s[22:23], s[24:25], 3
	s_waitcnt lgkmcnt(0)
	s_add_u32 s16, s16, s22
	s_addc_u32 s17, s17, s23
	s_lshl_b64 s[18:19], s[18:19], 3
	s_load_b64 s[16:17], s[16:17], 0x0
	s_waitcnt lgkmcnt(0)
	s_add_u32 s22, s16, s18
	s_addc_u32 s23, s17, s19
.LBB4_9:
	s_waitcnt lgkmcnt(0)
	s_lshl_b64 s[16:17], s[24:25], 3
	v_and_b32_e32 v6, 0x3ff, v0
	s_add_u32 s6, s6, s16
	s_addc_u32 s7, s7, s17
	v_bfe_u32 v0, v0, 10, 10
	s_load_b64 s[16:17], s[6:7], 0x0
	s_load_b64 s[6:7], s[0:1], 0x0
	s_lshl_b64 s[0:1], s[8:9], 3
	v_and_b32_e32 v9, 63, v6
	s_mov_b32 s8, -1
	v_lshl_add_u32 v7, v0, 6, v6
	s_waitcnt lgkmcnt(0)
	s_add_u32 s15, s16, s0
	s_addc_u32 s16, s17, s1
	s_lshl_b32 s14, s14, 6
	v_cmp_gt_u32_e64 s1, 64, v7
	v_or_b32_e32 v8, s14, v9
	s_and_not1_b32 vcc_lo, exec_lo, s26
	s_delay_alu instid0(VALU_DEP_1)
	v_cmp_gt_i32_e64 s0, s7, v8
	s_cbranch_vccnz .LBB4_16
; %bb.10:
	s_delay_alu instid0(VALU_DEP_1) | instskip(NEXT) | instid1(SALU_CYCLE_1)
	s_and_b32 s1, s1, s0
	s_and_saveexec_b32 s0, s1
	s_cbranch_execz .LBB4_15
; %bb.11:
	v_or_b32_e32 v0, s14, v6
	s_delay_alu instid0(VALU_DEP_1)
	v_cmp_gt_i32_e32 vcc_lo, s7, v0
	s_and_b32 exec_lo, exec_lo, vcc_lo
	s_cbranch_execz .LBB4_15
; %bb.12:
	v_ashrrev_i32_e32 v1, 31, v0
	v_mul_lo_u32 v2, v0, s11
	v_mad_u64_u32 v[3:4], null, v0, s10, 0
	v_cmp_neq_f32_e64 s1, s4, 0
	s_delay_alu instid0(VALU_DEP_4) | instskip(SKIP_1) | instid1(VALU_DEP_1)
	v_mul_lo_u32 v1, v1, s10
	v_cmp_neq_f32_e64 s8, s5, 0
	s_or_b32 s1, s1, s8
	s_delay_alu instid0(SALU_CYCLE_1) | instskip(NEXT) | instid1(VALU_DEP_2)
	s_and_not1_b32 vcc_lo, exec_lo, s1
	v_add3_u32 v4, v4, v2, v1
	v_mov_b32_e32 v2, 0
	s_delay_alu instid0(VALU_DEP_2)
	v_lshlrev_b64 v[0:1], 3, v[3:4]
	v_mov_b32_e32 v3, 0
	s_cbranch_vccnz .LBB4_14
; %bb.13:
	s_delay_alu instid0(VALU_DEP_2) | instskip(NEXT) | instid1(VALU_DEP_3)
	v_add_co_u32 v2, vcc_lo, s15, v0
	v_add_co_ci_u32_e32 v3, vcc_lo, s16, v1, vcc_lo
	global_load_b64 v[4:5], v[2:3], off
	s_waitcnt vmcnt(0)
	v_mul_f32_e32 v3, s4, v5
	s_delay_alu instid0(VALU_DEP_1) | instskip(NEXT) | instid1(VALU_DEP_1)
	v_dual_mul_f32 v2, s5, v5 :: v_dual_fmac_f32 v3, s5, v4
	v_fma_f32 v2, s4, v4, -v2
.LBB4_14:
	s_delay_alu instid0(VALU_DEP_2) | instskip(NEXT) | instid1(VALU_DEP_3)
	v_add_co_u32 v0, vcc_lo, s15, v0
	v_add_co_ci_u32_e32 v1, vcc_lo, s16, v1, vcc_lo
	global_store_b64 v[0:1], v[2:3], off
.LBB4_15:
	s_or_b32 exec_lo, exec_lo, s0
	s_mov_b32 s8, 0
.LBB4_16:
	s_delay_alu instid0(SALU_CYCLE_1)
	s_and_not1_b32 vcc_lo, exec_lo, s8
	s_cbranch_vccnz .LBB4_30
; %bb.17:
	v_lshrrev_b32_e32 v10, 6, v7
	v_dual_mov_b32 v1, 0 :: v_dual_mov_b32 v0, 0
	s_mov_b32 s18, 0
	s_mov_b32 s17, exec_lo
	s_delay_alu instid0(VALU_DEP_2)
	v_cmpx_gt_i32_e64 s7, v10
	s_cbranch_execz .LBB4_25
; %bb.18:
	v_lshrrev_b32_e32 v4, 6, v7
	s_bitcmp1_b32 s6, 0
	v_cmp_gt_i32_e32 vcc_lo, s7, v8
	s_cselect_b32 s0, -1, 0
	s_lshl_b32 s6, s7, 1
	v_mad_u64_u32 v[0:1], null, s2, v4, 0
	s_or_b32 s6, s6, 1
	s_lshl_b64 s[8:9], s[2:3], 7
	s_xor_b32 s19, s0, -1
	s_delay_alu instid0(VALU_DEP_1) | instskip(NEXT) | instid1(VALU_DEP_1)
	v_mad_u64_u32 v[2:3], null, s3, v4, v[1:2]
	v_mov_b32_e32 v1, v2
	s_delay_alu instid0(VALU_DEP_1) | instskip(SKIP_1) | instid1(VALU_DEP_1)
	v_lshlrev_b64 v[2:3], 3, v[0:1]
	v_mov_b32_e32 v1, 0
	v_dual_mov_b32 v0, v1 :: v_dual_add_nc_u32 v11, s14, v9
	s_delay_alu instid0(VALU_DEP_3) | instskip(NEXT) | instid1(VALU_DEP_1)
	v_add_co_u32 v2, s1, s22, v2
	v_add_co_ci_u32_e64 v3, s1, s23, v3, s1
	s_branch .LBB4_21
.LBB4_19:                               ;   in Loop: Header=BB4_21 Depth=1
	s_or_b32 exec_lo, exec_lo, s3
	flat_load_b64 v[13:14], v[2:3]
	flat_load_b32 v4, v[4:5]
	s_waitcnt vmcnt(1) lgkmcnt(1)
	v_mul_f32_e32 v5, v12, v14
	s_waitcnt vmcnt(0) lgkmcnt(0)
	v_mul_f32_e32 v14, v4, v14
	s_delay_alu instid0(VALU_DEP_2) | instskip(NEXT) | instid1(VALU_DEP_2)
	v_fma_f32 v4, v4, v13, -v5
	v_fmac_f32_e32 v14, v12, v13
	s_delay_alu instid0(VALU_DEP_1)
	v_dual_add_f32 v0, v0, v4 :: v_dual_add_f32 v1, v1, v14
.LBB4_20:                               ;   in Loop: Header=BB4_21 Depth=1
	s_or_b32 exec_lo, exec_lo, s22
	v_add_nc_u32_e32 v10, 16, v10
	v_add_co_u32 v2, s2, v2, s8
	s_delay_alu instid0(VALU_DEP_1) | instskip(NEXT) | instid1(VALU_DEP_3)
	v_add_co_ci_u32_e64 v3, s2, s9, v3, s2
	v_cmp_le_i32_e64 s1, s7, v10
	s_delay_alu instid0(VALU_DEP_1) | instskip(NEXT) | instid1(SALU_CYCLE_1)
	s_or_b32 s18, s1, s18
	s_and_not1_b32 exec_lo, exec_lo, s18
	s_cbranch_execz .LBB4_24
.LBB4_21:                               ; =>This Inner Loop Header: Depth=1
	s_and_saveexec_b32 s22, vcc_lo
	s_cbranch_execz .LBB4_20
; %bb.22:                               ;   in Loop: Header=BB4_21 Depth=1
	v_cmp_le_i32_e64 s1, v8, v10
	v_cmp_ge_i32_e64 s2, v8, v10
	s_delay_alu instid0(VALU_DEP_2) | instskip(NEXT) | instid1(VALU_DEP_1)
	s_or_b32 s1, s1, s19
	s_or_b32 s2, s2, s0
	s_delay_alu instid0(SALU_CYCLE_1) | instskip(NEXT) | instid1(SALU_CYCLE_1)
	s_and_b32 s1, s1, s2
	v_cndmask_b32_e64 v13, v8, v10, s1
	v_cndmask_b32_e64 v12, v10, v8, s1
	s_delay_alu instid0(VALU_DEP_2) | instskip(SKIP_1) | instid1(VALU_DEP_1)
	v_sub_nc_u32_e32 v4, s6, v13
	v_add_nc_u32_e32 v5, 1, v13
	v_cndmask_b32_e64 v14, v4, v5, s0
	s_delay_alu instid0(VALU_DEP_1) | instskip(SKIP_1) | instid1(VALU_DEP_1)
	v_mad_i64_i32 v[4:5], null, v14, v13, 0
	v_cndmask_b32_e64 v13, v13, 0, s0
	v_sub_nc_u32_e32 v12, v12, v13
	s_delay_alu instid0(VALU_DEP_3) | instskip(NEXT) | instid1(VALU_DEP_2)
	v_lshrrev_b32_e32 v14, 31, v5
	v_ashrrev_i32_e32 v13, 31, v12
	s_delay_alu instid0(VALU_DEP_2) | instskip(NEXT) | instid1(VALU_DEP_1)
	v_add_co_u32 v4, s2, v4, v14
	v_add_co_ci_u32_e64 v5, s2, 0, v5, s2
	s_delay_alu instid0(VALU_DEP_3) | instskip(NEXT) | instid1(VALU_DEP_2)
	v_lshlrev_b64 v[12:13], 3, v[12:13]
	v_lshlrev_b64 v[4:5], 2, v[4:5]
	s_delay_alu instid0(VALU_DEP_1) | instskip(NEXT) | instid1(VALU_DEP_1)
	v_and_b32_e32 v4, -8, v4
	v_add_co_u32 v4, s2, s20, v4
	s_delay_alu instid0(VALU_DEP_1) | instskip(NEXT) | instid1(VALU_DEP_2)
	v_add_co_ci_u32_e64 v5, s2, s21, v5, s2
	v_add_co_u32 v4, s3, v4, v12
	v_mov_b32_e32 v12, 0
	s_delay_alu instid0(VALU_DEP_3)
	v_add_co_ci_u32_e64 v5, s3, v5, v13, s3
	s_mov_b32 s3, exec_lo
	v_cmpx_ne_u32_e64 v11, v10
	s_cbranch_execz .LBB4_19
; %bb.23:                               ;   in Loop: Header=BB4_21 Depth=1
	flat_load_b32 v12, v[4:5] offset:4
	s_waitcnt vmcnt(0) lgkmcnt(0)
	v_cndmask_b32_e64 v12, -v12, v12, s1
	s_branch .LBB4_19
.LBB4_24:
	s_or_b32 exec_lo, exec_lo, s18
.LBB4_25:
	s_delay_alu instid0(SALU_CYCLE_1) | instskip(SKIP_3) | instid1(VALU_DEP_3)
	s_or_b32 exec_lo, exec_lo, s17
	v_and_or_b32 v2, 0x1ffc0, v7, v9
	v_cmp_gt_u32_e32 vcc_lo, 64, v7
	v_cmp_gt_i32_e64 s0, s7, v8
	v_lshlrev_b32_e32 v2, 3, v2
	s_delay_alu instid0(VALU_DEP_2)
	s_and_b32 s0, vcc_lo, s0
	ds_store_b64 v2, v[0:1]
	s_waitcnt lgkmcnt(0)
	s_waitcnt_vscnt null, 0x0
	s_barrier
	buffer_gl0_inv
	s_and_saveexec_b32 s1, s0
	s_cbranch_execz .LBB4_30
; %bb.26:
	v_lshlrev_b32_e32 v7, 3, v7
	v_lshlrev_b32_e32 v4, 3, v6
	s_ashr_i32 s1, s7, 31
	s_mov_b32 s0, s7
	ds_load_b64 v[0:1], v7
	ds_load_b64 v[2:3], v4 offset:512
	s_waitcnt lgkmcnt(0)
	v_dual_add_f32 v1, v1, v3 :: v_dual_add_f32 v0, v0, v2
	ds_store_b64 v7, v[0:1]
	ds_load_b64 v[2:3], v4 offset:1024
	s_waitcnt lgkmcnt(0)
	v_dual_add_f32 v0, v0, v2 :: v_dual_add_f32 v1, v1, v3
	ds_store_b64 v7, v[0:1]
	ds_load_b64 v[2:3], v4 offset:1536
	s_waitcnt lgkmcnt(0)
	v_dual_add_f32 v0, v0, v2 :: v_dual_add_f32 v1, v1, v3
	ds_store_b64 v7, v[0:1]
	ds_load_b64 v[2:3], v4 offset:2048
	s_waitcnt lgkmcnt(0)
	v_dual_add_f32 v0, v0, v2 :: v_dual_add_f32 v1, v1, v3
	ds_store_b64 v7, v[0:1]
	ds_load_b64 v[2:3], v4 offset:2560
	s_waitcnt lgkmcnt(0)
	v_dual_add_f32 v0, v0, v2 :: v_dual_add_f32 v1, v1, v3
	ds_store_b64 v7, v[0:1]
	ds_load_b64 v[2:3], v4 offset:3072
	s_waitcnt lgkmcnt(0)
	v_dual_add_f32 v0, v0, v2 :: v_dual_add_f32 v1, v1, v3
	ds_store_b64 v7, v[0:1]
	ds_load_b64 v[2:3], v4 offset:3584
	s_waitcnt lgkmcnt(0)
	v_dual_add_f32 v0, v0, v2 :: v_dual_add_f32 v1, v1, v3
	ds_store_b64 v7, v[0:1]
	ds_load_b64 v[2:3], v4 offset:4096
	s_waitcnt lgkmcnt(0)
	v_dual_add_f32 v0, v0, v2 :: v_dual_add_f32 v1, v1, v3
	ds_store_b64 v7, v[0:1]
	ds_load_b64 v[2:3], v4 offset:4608
	s_waitcnt lgkmcnt(0)
	v_dual_add_f32 v0, v0, v2 :: v_dual_add_f32 v1, v1, v3
	ds_store_b64 v7, v[0:1]
	ds_load_b64 v[2:3], v4 offset:5120
	s_waitcnt lgkmcnt(0)
	v_dual_add_f32 v0, v0, v2 :: v_dual_add_f32 v1, v1, v3
	ds_store_b64 v7, v[0:1]
	ds_load_b64 v[2:3], v4 offset:5632
	s_waitcnt lgkmcnt(0)
	v_dual_add_f32 v0, v0, v2 :: v_dual_add_f32 v1, v1, v3
	ds_store_b64 v7, v[0:1]
	ds_load_b64 v[2:3], v4 offset:6144
	s_waitcnt lgkmcnt(0)
	v_dual_add_f32 v0, v0, v2 :: v_dual_add_f32 v1, v1, v3
	ds_store_b64 v7, v[0:1]
	ds_load_b64 v[2:3], v4 offset:6656
	s_waitcnt lgkmcnt(0)
	v_dual_add_f32 v0, v0, v2 :: v_dual_add_f32 v1, v1, v3
	ds_store_b64 v7, v[0:1]
	ds_load_b64 v[2:3], v4 offset:7168
	s_waitcnt lgkmcnt(0)
	v_dual_add_f32 v2, v0, v2 :: v_dual_add_f32 v3, v1, v3
	v_or_b32_e32 v0, s14, v6
	ds_store_b64 v7, v[2:3]
	ds_load_b64 v[4:5], v4 offset:7680
	s_waitcnt lgkmcnt(0)
	v_dual_mov_b32 v1, 0 :: v_dual_add_f32 v2, v2, v4
	s_delay_alu instid0(VALU_DEP_1)
	v_cmp_gt_i64_e32 vcc_lo, s[0:1], v[0:1]
	v_add_f32_e32 v3, v3, v5
	ds_store_b64 v7, v[2:3]
	s_and_b32 exec_lo, exec_lo, vcc_lo
	s_cbranch_execz .LBB4_30
; %bb.27:
	v_mad_u64_u32 v[4:5], null, v0, s10, 0
	v_cmp_neq_f32_e64 s0, s4, 0
	v_cmp_neq_f32_e64 s1, s5, 0
	s_delay_alu instid0(VALU_DEP_1) | instskip(NEXT) | instid1(VALU_DEP_3)
	s_or_b32 s0, s0, s1
	v_mov_b32_e32 v1, v5
	s_and_not1_b32 vcc_lo, exec_lo, s0
	s_delay_alu instid0(VALU_DEP_1) | instskip(SKIP_2) | instid1(VALU_DEP_2)
	v_mad_u64_u32 v[5:6], null, v0, s11, v[1:2]
	v_mul_f32_e32 v0, s13, v3
	v_mul_f32_e32 v1, s12, v3
	v_fma_f32 v0, v2, s12, -v0
	s_delay_alu instid0(VALU_DEP_4) | instskip(NEXT) | instid1(VALU_DEP_3)
	v_lshlrev_b64 v[3:4], 3, v[4:5]
	v_fmac_f32_e32 v1, s13, v2
	s_cbranch_vccnz .LBB4_29
; %bb.28:
	s_delay_alu instid0(VALU_DEP_2) | instskip(NEXT) | instid1(VALU_DEP_3)
	v_add_co_u32 v5, vcc_lo, s15, v3
	v_add_co_ci_u32_e32 v6, vcc_lo, s16, v4, vcc_lo
	global_load_b64 v[5:6], v[5:6], off
	s_waitcnt vmcnt(0)
	v_mul_f32_e32 v2, s5, v6
	v_mul_f32_e32 v6, s4, v6
	s_delay_alu instid0(VALU_DEP_2) | instskip(NEXT) | instid1(VALU_DEP_2)
	v_fma_f32 v2, s4, v5, -v2
	v_fmac_f32_e32 v6, s5, v5
	s_delay_alu instid0(VALU_DEP_2) | instskip(NEXT) | instid1(VALU_DEP_2)
	v_add_f32_e32 v0, v0, v2
	v_add_f32_e32 v1, v1, v6
.LBB4_29:
	s_delay_alu instid0(VALU_DEP_2) | instskip(NEXT) | instid1(VALU_DEP_3)
	v_add_co_u32 v2, vcc_lo, s15, v3
	v_add_co_ci_u32_e32 v3, vcc_lo, s16, v4, vcc_lo
	global_store_b64 v[2:3], v[0:1], off
.LBB4_30:
	s_nop 0
	s_sendmsg sendmsg(MSG_DEALLOC_VGPRS)
	s_endpgm
	.section	.rodata,"a",@progbits
	.p2align	6, 0x0
	.amdhsa_kernel _ZL19rocblas_hpmv_kernelILi64ELi16EPK19rocblas_complex_numIfEPKS3_PKPS1_EvbiT1_T2_llSA_lllS9_T3_llli
		.amdhsa_group_segment_fixed_size 8192
		.amdhsa_private_segment_fixed_size 0
		.amdhsa_kernarg_size 116
		.amdhsa_user_sgpr_count 14
		.amdhsa_user_sgpr_dispatch_ptr 0
		.amdhsa_user_sgpr_queue_ptr 0
		.amdhsa_user_sgpr_kernarg_segment_ptr 1
		.amdhsa_user_sgpr_dispatch_id 0
		.amdhsa_user_sgpr_private_segment_size 0
		.amdhsa_wavefront_size32 1
		.amdhsa_uses_dynamic_stack 0
		.amdhsa_enable_private_segment 0
		.amdhsa_system_sgpr_workgroup_id_x 1
		.amdhsa_system_sgpr_workgroup_id_y 0
		.amdhsa_system_sgpr_workgroup_id_z 1
		.amdhsa_system_sgpr_workgroup_info 0
		.amdhsa_system_vgpr_workitem_id 1
		.amdhsa_next_free_vgpr 15
		.amdhsa_next_free_sgpr 27
		.amdhsa_reserve_vcc 1
		.amdhsa_float_round_mode_32 0
		.amdhsa_float_round_mode_16_64 0
		.amdhsa_float_denorm_mode_32 3
		.amdhsa_float_denorm_mode_16_64 3
		.amdhsa_dx10_clamp 1
		.amdhsa_ieee_mode 1
		.amdhsa_fp16_overflow 0
		.amdhsa_workgroup_processor_mode 1
		.amdhsa_memory_ordered 1
		.amdhsa_forward_progress 0
		.amdhsa_shared_vgpr_count 0
		.amdhsa_exception_fp_ieee_invalid_op 0
		.amdhsa_exception_fp_denorm_src 0
		.amdhsa_exception_fp_ieee_div_zero 0
		.amdhsa_exception_fp_ieee_overflow 0
		.amdhsa_exception_fp_ieee_underflow 0
		.amdhsa_exception_fp_ieee_inexact 0
		.amdhsa_exception_int_div_zero 0
	.end_amdhsa_kernel
	.section	.text._ZL19rocblas_hpmv_kernelILi64ELi16EPK19rocblas_complex_numIfEPKS3_PKPS1_EvbiT1_T2_llSA_lllS9_T3_llli,"axG",@progbits,_ZL19rocblas_hpmv_kernelILi64ELi16EPK19rocblas_complex_numIfEPKS3_PKPS1_EvbiT1_T2_llSA_lllS9_T3_llli,comdat
.Lfunc_end4:
	.size	_ZL19rocblas_hpmv_kernelILi64ELi16EPK19rocblas_complex_numIfEPKS3_PKPS1_EvbiT1_T2_llSA_lllS9_T3_llli, .Lfunc_end4-_ZL19rocblas_hpmv_kernelILi64ELi16EPK19rocblas_complex_numIfEPKS3_PKPS1_EvbiT1_T2_llSA_lllS9_T3_llli
                                        ; -- End function
	.section	.AMDGPU.csdata,"",@progbits
; Kernel info:
; codeLenInByte = 1888
; NumSgprs: 29
; NumVgprs: 15
; ScratchSize: 0
; MemoryBound: 0
; FloatMode: 240
; IeeeMode: 1
; LDSByteSize: 8192 bytes/workgroup (compile time only)
; SGPRBlocks: 3
; VGPRBlocks: 1
; NumSGPRsForWavesPerEU: 29
; NumVGPRsForWavesPerEU: 15
; Occupancy: 16
; WaveLimiterHint : 1
; COMPUTE_PGM_RSRC2:SCRATCH_EN: 0
; COMPUTE_PGM_RSRC2:USER_SGPR: 14
; COMPUTE_PGM_RSRC2:TRAP_HANDLER: 0
; COMPUTE_PGM_RSRC2:TGID_X_EN: 1
; COMPUTE_PGM_RSRC2:TGID_Y_EN: 0
; COMPUTE_PGM_RSRC2:TGID_Z_EN: 1
; COMPUTE_PGM_RSRC2:TIDIG_COMP_CNT: 1
	.section	.text._ZL19rocblas_hpmv_kernelILi64ELi16E19rocblas_complex_numIfEPKPKS1_PKPS1_EvbiT1_T2_llSA_lllS9_T3_llli,"axG",@progbits,_ZL19rocblas_hpmv_kernelILi64ELi16E19rocblas_complex_numIfEPKPKS1_PKPS1_EvbiT1_T2_llSA_lllS9_T3_llli,comdat
	.globl	_ZL19rocblas_hpmv_kernelILi64ELi16E19rocblas_complex_numIfEPKPKS1_PKPS1_EvbiT1_T2_llSA_lllS9_T3_llli ; -- Begin function _ZL19rocblas_hpmv_kernelILi64ELi16E19rocblas_complex_numIfEPKPKS1_PKPS1_EvbiT1_T2_llSA_lllS9_T3_llli
	.p2align	8
	.type	_ZL19rocblas_hpmv_kernelILi64ELi16E19rocblas_complex_numIfEPKPKS1_PKPS1_EvbiT1_T2_llSA_lllS9_T3_llli,@function
_ZL19rocblas_hpmv_kernelILi64ELi16E19rocblas_complex_numIfEPKPKS1_PKPS1_EvbiT1_T2_llSA_lllS9_T3_llli: ; @_ZL19rocblas_hpmv_kernelILi64ELi16E19rocblas_complex_numIfEPKPKS1_PKPS1_EvbiT1_T2_llSA_lllS9_T3_llli
; %bb.0:
	s_clause 0x1
	s_load_b128 s[4:7], s[0:1], 0x0
	s_load_b64 s[12:13], s[0:1], 0x48
	s_mov_b32 s20, s15
	s_waitcnt lgkmcnt(0)
	v_cmp_neq_f32_e64 s2, s6, 0
	v_cmp_neq_f32_e64 s3, s7, 0
	s_delay_alu instid0(VALU_DEP_1) | instskip(NEXT) | instid1(SALU_CYCLE_1)
	s_or_b32 s2, s2, s3
	s_and_b32 vcc_lo, exec_lo, s2
	s_mov_b32 s2, -1
	s_cbranch_vccnz .LBB5_2
; %bb.1:
	v_cmp_neq_f32_e64 s2, s12, 1.0
	v_cmp_neq_f32_e64 s3, s13, 0
	s_delay_alu instid0(VALU_DEP_1)
	s_or_b32 s2, s2, s3
.LBB5_2:
	s_delay_alu instid0(SALU_CYCLE_1)
	s_and_not1_b32 vcc_lo, exec_lo, s2
	s_cbranch_vccnz .LBB5_30
; %bb.3:
	s_or_b32 s2, s6, s7
	s_mov_b32 s21, 0
	s_bitset0_b32 s2, 31
	s_delay_alu instid0(SALU_CYCLE_1)
	s_cmp_lg_u32 s2, 0
	s_cselect_b32 s15, -1, 0
	s_cmp_eq_u32 s2, 0
	s_cselect_b32 s22, -1, 0
	s_and_b32 vcc_lo, exec_lo, s15
	s_cbranch_vccnz .LBB5_5
; %bb.4:
	s_mov_b64 s[16:17], 0
	s_and_not1_b32 vcc_lo, exec_lo, s21
	s_cbranch_vccz .LBB5_6
	s_branch .LBB5_7
.LBB5_5:
	s_mov_b32 s21, -1
                                        ; implicit-def: $sgpr16_sgpr17
.LBB5_6:
	s_load_b128 s[8:11], s[0:1], 0x10
	s_mov_b32 s21, 0
	s_delay_alu instid0(SALU_CYCLE_1)
	s_lshl_b64 s[2:3], s[20:21], 3
	s_waitcnt lgkmcnt(0)
	s_add_u32 s2, s8, s2
	s_addc_u32 s3, s9, s3
	s_lshl_b64 s[8:9], s[10:11], 3
	s_load_b64 s[2:3], s[2:3], 0x0
	s_waitcnt lgkmcnt(0)
	s_add_u32 s16, s2, s8
	s_addc_u32 s17, s3, s9
.LBB5_7:
	s_clause 0x1
	s_load_b128 s[8:11], s[0:1], 0x28
	s_load_b64 s[2:3], s[0:1], 0x38
	s_and_not1_b32 vcc_lo, exec_lo, s15
	s_mov_b64 s[18:19], 0
	s_cbranch_vccnz .LBB5_9
; %bb.8:
	s_lshl_b64 s[18:19], s[20:21], 3
	s_waitcnt lgkmcnt(0)
	s_add_u32 s8, s8, s18
	s_addc_u32 s9, s9, s19
	s_lshl_b64 s[10:11], s[10:11], 3
	s_load_b64 s[8:9], s[8:9], 0x0
	s_waitcnt lgkmcnt(0)
	s_add_u32 s18, s8, s10
	s_addc_u32 s19, s9, s11
.LBB5_9:
	s_load_b128 s[24:27], s[0:1], 0x50
	s_waitcnt lgkmcnt(0)
	s_load_b64 s[8:9], s[0:1], 0x60
	s_lshl_b64 s[10:11], s[20:21], 3
	v_and_b32_e32 v6, 0x3ff, v0
	v_bfe_u32 v0, v0, 10, 10
	s_delay_alu instid0(VALU_DEP_2) | instskip(NEXT) | instid1(VALU_DEP_2)
	v_and_b32_e32 v9, 63, v6
	v_lshl_add_u32 v7, v0, 6, v6
	s_add_u32 s0, s24, s10
	s_addc_u32 s1, s25, s11
	s_lshl_b64 s[10:11], s[26:27], 3
	s_load_b64 s[0:1], s[0:1], 0x0
	s_waitcnt lgkmcnt(0)
	s_add_u32 s15, s0, s10
	s_addc_u32 s20, s1, s11
	s_lshl_b32 s14, s14, 6
	v_cmp_gt_u32_e64 s1, 64, v7
	v_or_b32_e32 v8, s14, v9
	s_and_not1_b32 vcc_lo, exec_lo, s22
	s_mov_b32 s10, -1
	s_delay_alu instid0(VALU_DEP_1)
	v_cmp_gt_i32_e64 s0, s5, v8
	s_cbranch_vccnz .LBB5_16
; %bb.10:
	s_delay_alu instid0(VALU_DEP_1) | instskip(NEXT) | instid1(SALU_CYCLE_1)
	s_and_b32 s1, s1, s0
	s_and_saveexec_b32 s0, s1
	s_cbranch_execz .LBB5_15
; %bb.11:
	v_or_b32_e32 v0, s14, v6
	s_delay_alu instid0(VALU_DEP_1)
	v_cmp_gt_i32_e32 vcc_lo, s5, v0
	s_and_b32 exec_lo, exec_lo, vcc_lo
	s_cbranch_execz .LBB5_15
; %bb.12:
	v_ashrrev_i32_e32 v1, 31, v0
	v_mul_lo_u32 v2, v0, s9
	v_mad_u64_u32 v[3:4], null, v0, s8, 0
	v_cmp_neq_f32_e64 s1, s12, 0
	s_delay_alu instid0(VALU_DEP_4) | instskip(SKIP_1) | instid1(VALU_DEP_1)
	v_mul_lo_u32 v1, v1, s8
	v_cmp_neq_f32_e64 s10, s13, 0
	s_or_b32 s1, s1, s10
	s_delay_alu instid0(SALU_CYCLE_1) | instskip(NEXT) | instid1(VALU_DEP_2)
	s_and_not1_b32 vcc_lo, exec_lo, s1
	v_add3_u32 v4, v4, v2, v1
	v_mov_b32_e32 v2, 0
	s_delay_alu instid0(VALU_DEP_2)
	v_lshlrev_b64 v[0:1], 3, v[3:4]
	v_mov_b32_e32 v3, 0
	s_cbranch_vccnz .LBB5_14
; %bb.13:
	s_delay_alu instid0(VALU_DEP_2) | instskip(NEXT) | instid1(VALU_DEP_3)
	v_add_co_u32 v2, vcc_lo, s15, v0
	v_add_co_ci_u32_e32 v3, vcc_lo, s20, v1, vcc_lo
	global_load_b64 v[4:5], v[2:3], off
	s_waitcnt vmcnt(0)
	v_mul_f32_e32 v3, s12, v5
	s_delay_alu instid0(VALU_DEP_1) | instskip(NEXT) | instid1(VALU_DEP_1)
	v_dual_mul_f32 v2, s13, v5 :: v_dual_fmac_f32 v3, s13, v4
	v_fma_f32 v2, s12, v4, -v2
.LBB5_14:
	s_delay_alu instid0(VALU_DEP_2) | instskip(NEXT) | instid1(VALU_DEP_3)
	v_add_co_u32 v0, vcc_lo, s15, v0
	v_add_co_ci_u32_e32 v1, vcc_lo, s20, v1, vcc_lo
	global_store_b64 v[0:1], v[2:3], off
.LBB5_15:
	s_or_b32 exec_lo, exec_lo, s0
	s_mov_b32 s10, 0
.LBB5_16:
	s_delay_alu instid0(SALU_CYCLE_1)
	s_and_not1_b32 vcc_lo, exec_lo, s10
	s_cbranch_vccnz .LBB5_30
; %bb.17:
	v_lshrrev_b32_e32 v10, 6, v7
	v_dual_mov_b32 v1, 0 :: v_dual_mov_b32 v0, 0
	s_mov_b32 s22, 0
	s_mov_b32 s21, exec_lo
	s_delay_alu instid0(VALU_DEP_2)
	v_cmpx_gt_i32_e64 s5, v10
	s_cbranch_execz .LBB5_25
; %bb.18:
	v_lshrrev_b32_e32 v4, 6, v7
	s_bitcmp1_b32 s4, 0
	v_cmp_gt_i32_e32 vcc_lo, s5, v8
	s_cselect_b32 s0, -1, 0
	s_lshl_b32 s4, s5, 1
	v_mad_u64_u32 v[0:1], null, s2, v4, 0
	s_or_b32 s4, s4, 1
	s_lshl_b64 s[10:11], s[2:3], 7
	s_delay_alu instid0(VALU_DEP_1) | instskip(NEXT) | instid1(VALU_DEP_1)
	v_mad_u64_u32 v[2:3], null, s3, v4, v[1:2]
	v_mov_b32_e32 v1, v2
	s_delay_alu instid0(VALU_DEP_1) | instskip(SKIP_1) | instid1(VALU_DEP_1)
	v_lshlrev_b64 v[2:3], 3, v[0:1]
	v_mov_b32_e32 v1, 0
	v_dual_mov_b32 v0, v1 :: v_dual_add_nc_u32 v11, s14, v9
	s_delay_alu instid0(VALU_DEP_3) | instskip(NEXT) | instid1(VALU_DEP_1)
	v_add_co_u32 v2, s1, s18, v2
	v_add_co_ci_u32_e64 v3, s1, s19, v3, s1
	s_xor_b32 s18, s0, -1
	s_branch .LBB5_21
.LBB5_19:                               ;   in Loop: Header=BB5_21 Depth=1
	s_or_b32 exec_lo, exec_lo, s3
	flat_load_b64 v[13:14], v[2:3]
	flat_load_b32 v4, v[4:5]
	s_waitcnt vmcnt(1) lgkmcnt(1)
	v_mul_f32_e32 v5, v12, v14
	s_waitcnt vmcnt(0) lgkmcnt(0)
	v_mul_f32_e32 v14, v4, v14
	s_delay_alu instid0(VALU_DEP_2) | instskip(NEXT) | instid1(VALU_DEP_2)
	v_fma_f32 v4, v4, v13, -v5
	v_fmac_f32_e32 v14, v12, v13
	s_delay_alu instid0(VALU_DEP_1)
	v_dual_add_f32 v0, v0, v4 :: v_dual_add_f32 v1, v1, v14
.LBB5_20:                               ;   in Loop: Header=BB5_21 Depth=1
	s_or_b32 exec_lo, exec_lo, s19
	v_add_nc_u32_e32 v10, 16, v10
	v_add_co_u32 v2, s2, v2, s10
	s_delay_alu instid0(VALU_DEP_1) | instskip(NEXT) | instid1(VALU_DEP_3)
	v_add_co_ci_u32_e64 v3, s2, s11, v3, s2
	v_cmp_le_i32_e64 s1, s5, v10
	s_delay_alu instid0(VALU_DEP_1) | instskip(NEXT) | instid1(SALU_CYCLE_1)
	s_or_b32 s22, s1, s22
	s_and_not1_b32 exec_lo, exec_lo, s22
	s_cbranch_execz .LBB5_24
.LBB5_21:                               ; =>This Inner Loop Header: Depth=1
	s_and_saveexec_b32 s19, vcc_lo
	s_cbranch_execz .LBB5_20
; %bb.22:                               ;   in Loop: Header=BB5_21 Depth=1
	v_cmp_le_i32_e64 s1, v8, v10
	v_cmp_ge_i32_e64 s2, v8, v10
	s_delay_alu instid0(VALU_DEP_2) | instskip(NEXT) | instid1(VALU_DEP_1)
	s_or_b32 s1, s1, s18
	s_or_b32 s2, s2, s0
	s_delay_alu instid0(SALU_CYCLE_1) | instskip(NEXT) | instid1(SALU_CYCLE_1)
	s_and_b32 s1, s1, s2
	v_cndmask_b32_e64 v13, v8, v10, s1
	v_cndmask_b32_e64 v12, v10, v8, s1
	s_delay_alu instid0(VALU_DEP_2) | instskip(SKIP_1) | instid1(VALU_DEP_1)
	v_sub_nc_u32_e32 v4, s4, v13
	v_add_nc_u32_e32 v5, 1, v13
	v_cndmask_b32_e64 v14, v4, v5, s0
	s_delay_alu instid0(VALU_DEP_1) | instskip(SKIP_1) | instid1(VALU_DEP_1)
	v_mad_i64_i32 v[4:5], null, v14, v13, 0
	v_cndmask_b32_e64 v13, v13, 0, s0
	v_sub_nc_u32_e32 v12, v12, v13
	s_delay_alu instid0(VALU_DEP_3) | instskip(NEXT) | instid1(VALU_DEP_2)
	v_lshrrev_b32_e32 v14, 31, v5
	v_ashrrev_i32_e32 v13, 31, v12
	s_delay_alu instid0(VALU_DEP_2) | instskip(NEXT) | instid1(VALU_DEP_1)
	v_add_co_u32 v4, s2, v4, v14
	v_add_co_ci_u32_e64 v5, s2, 0, v5, s2
	s_delay_alu instid0(VALU_DEP_3) | instskip(NEXT) | instid1(VALU_DEP_2)
	v_lshlrev_b64 v[12:13], 3, v[12:13]
	v_lshlrev_b64 v[4:5], 2, v[4:5]
	s_delay_alu instid0(VALU_DEP_1) | instskip(NEXT) | instid1(VALU_DEP_1)
	v_and_b32_e32 v4, -8, v4
	v_add_co_u32 v4, s2, s16, v4
	s_delay_alu instid0(VALU_DEP_1) | instskip(NEXT) | instid1(VALU_DEP_2)
	v_add_co_ci_u32_e64 v5, s2, s17, v5, s2
	v_add_co_u32 v4, s3, v4, v12
	v_mov_b32_e32 v12, 0
	s_delay_alu instid0(VALU_DEP_3)
	v_add_co_ci_u32_e64 v5, s3, v5, v13, s3
	s_mov_b32 s3, exec_lo
	v_cmpx_ne_u32_e64 v11, v10
	s_cbranch_execz .LBB5_19
; %bb.23:                               ;   in Loop: Header=BB5_21 Depth=1
	flat_load_b32 v12, v[4:5] offset:4
	s_waitcnt vmcnt(0) lgkmcnt(0)
	v_cndmask_b32_e64 v12, -v12, v12, s1
	s_branch .LBB5_19
.LBB5_24:
	s_or_b32 exec_lo, exec_lo, s22
.LBB5_25:
	s_delay_alu instid0(SALU_CYCLE_1) | instskip(SKIP_3) | instid1(VALU_DEP_3)
	s_or_b32 exec_lo, exec_lo, s21
	v_and_or_b32 v2, 0x1ffc0, v7, v9
	v_cmp_gt_u32_e32 vcc_lo, 64, v7
	v_cmp_gt_i32_e64 s0, s5, v8
	v_lshlrev_b32_e32 v2, 3, v2
	s_delay_alu instid0(VALU_DEP_2)
	s_and_b32 s0, vcc_lo, s0
	ds_store_b64 v2, v[0:1]
	s_waitcnt lgkmcnt(0)
	s_waitcnt_vscnt null, 0x0
	s_barrier
	buffer_gl0_inv
	s_and_saveexec_b32 s1, s0
	s_cbranch_execz .LBB5_30
; %bb.26:
	v_lshlrev_b32_e32 v7, 3, v7
	v_lshlrev_b32_e32 v4, 3, v6
	s_ashr_i32 s1, s5, 31
	s_mov_b32 s0, s5
	ds_load_b64 v[0:1], v7
	ds_load_b64 v[2:3], v4 offset:512
	s_waitcnt lgkmcnt(0)
	v_dual_add_f32 v1, v1, v3 :: v_dual_add_f32 v0, v0, v2
	ds_store_b64 v7, v[0:1]
	ds_load_b64 v[2:3], v4 offset:1024
	s_waitcnt lgkmcnt(0)
	v_dual_add_f32 v0, v0, v2 :: v_dual_add_f32 v1, v1, v3
	ds_store_b64 v7, v[0:1]
	;; [unrolled: 4-line block ×13, first 2 shown]
	ds_load_b64 v[2:3], v4 offset:7168
	s_waitcnt lgkmcnt(0)
	v_dual_add_f32 v2, v0, v2 :: v_dual_add_f32 v3, v1, v3
	v_or_b32_e32 v0, s14, v6
	ds_store_b64 v7, v[2:3]
	ds_load_b64 v[4:5], v4 offset:7680
	s_waitcnt lgkmcnt(0)
	v_dual_mov_b32 v1, 0 :: v_dual_add_f32 v2, v2, v4
	s_delay_alu instid0(VALU_DEP_1)
	v_cmp_gt_i64_e32 vcc_lo, s[0:1], v[0:1]
	v_add_f32_e32 v3, v3, v5
	ds_store_b64 v7, v[2:3]
	s_and_b32 exec_lo, exec_lo, vcc_lo
	s_cbranch_execz .LBB5_30
; %bb.27:
	v_mad_u64_u32 v[4:5], null, v0, s8, 0
	v_cmp_neq_f32_e64 s0, s12, 0
	v_cmp_neq_f32_e64 s1, s13, 0
	s_delay_alu instid0(VALU_DEP_1) | instskip(NEXT) | instid1(VALU_DEP_3)
	s_or_b32 s0, s0, s1
	v_mov_b32_e32 v1, v5
	s_and_not1_b32 vcc_lo, exec_lo, s0
	s_delay_alu instid0(VALU_DEP_1) | instskip(SKIP_2) | instid1(VALU_DEP_2)
	v_mad_u64_u32 v[5:6], null, v0, s9, v[1:2]
	v_mul_f32_e32 v0, s7, v3
	v_mul_f32_e32 v1, s6, v3
	v_fma_f32 v0, v2, s6, -v0
	s_delay_alu instid0(VALU_DEP_4) | instskip(NEXT) | instid1(VALU_DEP_3)
	v_lshlrev_b64 v[3:4], 3, v[4:5]
	v_fmac_f32_e32 v1, s7, v2
	s_cbranch_vccnz .LBB5_29
; %bb.28:
	s_delay_alu instid0(VALU_DEP_2) | instskip(NEXT) | instid1(VALU_DEP_3)
	v_add_co_u32 v5, vcc_lo, s15, v3
	v_add_co_ci_u32_e32 v6, vcc_lo, s20, v4, vcc_lo
	global_load_b64 v[5:6], v[5:6], off
	s_waitcnt vmcnt(0)
	v_mul_f32_e32 v2, s13, v6
	v_mul_f32_e32 v6, s12, v6
	s_delay_alu instid0(VALU_DEP_2) | instskip(NEXT) | instid1(VALU_DEP_2)
	v_fma_f32 v2, s12, v5, -v2
	v_fmac_f32_e32 v6, s13, v5
	s_delay_alu instid0(VALU_DEP_2) | instskip(NEXT) | instid1(VALU_DEP_2)
	v_add_f32_e32 v0, v0, v2
	v_add_f32_e32 v1, v1, v6
.LBB5_29:
	s_delay_alu instid0(VALU_DEP_2) | instskip(NEXT) | instid1(VALU_DEP_3)
	v_add_co_u32 v2, vcc_lo, s15, v3
	v_add_co_ci_u32_e32 v3, vcc_lo, s20, v4, vcc_lo
	global_store_b64 v[2:3], v[0:1], off
.LBB5_30:
	s_nop 0
	s_sendmsg sendmsg(MSG_DEALLOC_VGPRS)
	s_endpgm
	.section	.rodata,"a",@progbits
	.p2align	6, 0x0
	.amdhsa_kernel _ZL19rocblas_hpmv_kernelILi64ELi16E19rocblas_complex_numIfEPKPKS1_PKPS1_EvbiT1_T2_llSA_lllS9_T3_llli
		.amdhsa_group_segment_fixed_size 8192
		.amdhsa_private_segment_fixed_size 0
		.amdhsa_kernarg_size 116
		.amdhsa_user_sgpr_count 14
		.amdhsa_user_sgpr_dispatch_ptr 0
		.amdhsa_user_sgpr_queue_ptr 0
		.amdhsa_user_sgpr_kernarg_segment_ptr 1
		.amdhsa_user_sgpr_dispatch_id 0
		.amdhsa_user_sgpr_private_segment_size 0
		.amdhsa_wavefront_size32 1
		.amdhsa_uses_dynamic_stack 0
		.amdhsa_enable_private_segment 0
		.amdhsa_system_sgpr_workgroup_id_x 1
		.amdhsa_system_sgpr_workgroup_id_y 0
		.amdhsa_system_sgpr_workgroup_id_z 1
		.amdhsa_system_sgpr_workgroup_info 0
		.amdhsa_system_vgpr_workitem_id 1
		.amdhsa_next_free_vgpr 15
		.amdhsa_next_free_sgpr 28
		.amdhsa_reserve_vcc 1
		.amdhsa_float_round_mode_32 0
		.amdhsa_float_round_mode_16_64 0
		.amdhsa_float_denorm_mode_32 3
		.amdhsa_float_denorm_mode_16_64 3
		.amdhsa_dx10_clamp 1
		.amdhsa_ieee_mode 1
		.amdhsa_fp16_overflow 0
		.amdhsa_workgroup_processor_mode 1
		.amdhsa_memory_ordered 1
		.amdhsa_forward_progress 0
		.amdhsa_shared_vgpr_count 0
		.amdhsa_exception_fp_ieee_invalid_op 0
		.amdhsa_exception_fp_denorm_src 0
		.amdhsa_exception_fp_ieee_div_zero 0
		.amdhsa_exception_fp_ieee_overflow 0
		.amdhsa_exception_fp_ieee_underflow 0
		.amdhsa_exception_fp_ieee_inexact 0
		.amdhsa_exception_int_div_zero 0
	.end_amdhsa_kernel
	.section	.text._ZL19rocblas_hpmv_kernelILi64ELi16E19rocblas_complex_numIfEPKPKS1_PKPS1_EvbiT1_T2_llSA_lllS9_T3_llli,"axG",@progbits,_ZL19rocblas_hpmv_kernelILi64ELi16E19rocblas_complex_numIfEPKPKS1_PKPS1_EvbiT1_T2_llSA_lllS9_T3_llli,comdat
.Lfunc_end5:
	.size	_ZL19rocblas_hpmv_kernelILi64ELi16E19rocblas_complex_numIfEPKPKS1_PKPS1_EvbiT1_T2_llSA_lllS9_T3_llli, .Lfunc_end5-_ZL19rocblas_hpmv_kernelILi64ELi16E19rocblas_complex_numIfEPKPKS1_PKPS1_EvbiT1_T2_llSA_lllS9_T3_llli
                                        ; -- End function
	.section	.AMDGPU.csdata,"",@progbits
; Kernel info:
; codeLenInByte = 1884
; NumSgprs: 30
; NumVgprs: 15
; ScratchSize: 0
; MemoryBound: 0
; FloatMode: 240
; IeeeMode: 1
; LDSByteSize: 8192 bytes/workgroup (compile time only)
; SGPRBlocks: 3
; VGPRBlocks: 1
; NumSGPRsForWavesPerEU: 30
; NumVGPRsForWavesPerEU: 15
; Occupancy: 16
; WaveLimiterHint : 1
; COMPUTE_PGM_RSRC2:SCRATCH_EN: 0
; COMPUTE_PGM_RSRC2:USER_SGPR: 14
; COMPUTE_PGM_RSRC2:TRAP_HANDLER: 0
; COMPUTE_PGM_RSRC2:TGID_X_EN: 1
; COMPUTE_PGM_RSRC2:TGID_Y_EN: 0
; COMPUTE_PGM_RSRC2:TGID_Z_EN: 1
; COMPUTE_PGM_RSRC2:TIDIG_COMP_CNT: 1
	.section	.text._ZL19rocblas_hpmv_kernelILi64ELi16EPK19rocblas_complex_numIdEPKS3_PKPS1_EvbiT1_T2_llSA_lllS9_T3_llli,"axG",@progbits,_ZL19rocblas_hpmv_kernelILi64ELi16EPK19rocblas_complex_numIdEPKS3_PKPS1_EvbiT1_T2_llSA_lllS9_T3_llli,comdat
	.globl	_ZL19rocblas_hpmv_kernelILi64ELi16EPK19rocblas_complex_numIdEPKS3_PKPS1_EvbiT1_T2_llSA_lllS9_T3_llli ; -- Begin function _ZL19rocblas_hpmv_kernelILi64ELi16EPK19rocblas_complex_numIdEPKS3_PKPS1_EvbiT1_T2_llSA_lllS9_T3_llli
	.p2align	8
	.type	_ZL19rocblas_hpmv_kernelILi64ELi16EPK19rocblas_complex_numIdEPKS3_PKPS1_EvbiT1_T2_llSA_lllS9_T3_llli,@function
_ZL19rocblas_hpmv_kernelILi64ELi16EPK19rocblas_complex_numIdEPKS3_PKPS1_EvbiT1_T2_llSA_lllS9_T3_llli: ; @_ZL19rocblas_hpmv_kernelILi64ELi16EPK19rocblas_complex_numIdEPKS3_PKPS1_EvbiT1_T2_llSA_lllS9_T3_llli
; %bb.0:
	s_clause 0x1
	s_load_b128 s[24:27], s[0:1], 0x8
	s_load_b256 s[4:11], s[0:1], 0x48
	s_mov_b32 s30, s15
	s_waitcnt lgkmcnt(0)
	s_load_b128 s[20:23], s[24:25], 0x0
	s_load_b128 s[16:19], s[4:5], 0x0
	s_waitcnt lgkmcnt(0)
	v_cmp_neq_f64_e64 s2, s[20:21], 0
	v_cmp_neq_f64_e64 s3, s[22:23], 0
	s_delay_alu instid0(VALU_DEP_1)
	s_or_b32 s4, s2, s3
	s_mov_b32 s2, -1
	s_and_b32 vcc_lo, exec_lo, s4
	s_cbranch_vccnz .LBB6_2
; %bb.1:
	v_cmp_neq_f64_e64 s2, s[16:17], 1.0
	v_cmp_neq_f64_e64 s3, s[18:19], 0
	s_delay_alu instid0(VALU_DEP_1)
	s_or_b32 s2, s2, s3
.LBB6_2:
	s_delay_alu instid0(SALU_CYCLE_1)
	s_and_not1_b32 vcc_lo, exec_lo, s2
	s_cbranch_vccnz .LBB6_35
; %bb.3:
	s_xor_b32 s2, s4, -1
	s_delay_alu instid0(SALU_CYCLE_1)
	v_cndmask_b32_e64 v1, 0, 1, s2
	s_and_not1_b32 vcc_lo, exec_lo, s2
	s_cbranch_vccnz .LBB6_5
; %bb.4:
	s_mov_b32 s31, 0
	s_mov_b64 s[12:13], 0
	s_cbranch_execz .LBB6_6
	s_branch .LBB6_7
.LBB6_5:
	s_mov_b32 s31, -1
                                        ; implicit-def: $sgpr12_sgpr13
.LBB6_6:
	s_mov_b32 s31, 0
	s_load_b64 s[12:13], s[0:1], 0x18
	s_lshl_b64 s[2:3], s[30:31], 3
	s_delay_alu instid0(SALU_CYCLE_1) | instskip(SKIP_4) | instid1(SALU_CYCLE_1)
	s_add_u32 s2, s26, s2
	s_addc_u32 s3, s27, s3
	s_load_b64 s[2:3], s[2:3], 0x0
	s_waitcnt lgkmcnt(0)
	s_lshl_b64 s[12:13], s[12:13], 4
	s_add_u32 s12, s2, s12
	s_addc_u32 s13, s3, s13
.LBB6_7:
	s_clause 0x1
	s_load_b128 s[24:27], s[0:1], 0x28
	s_load_b64 s[2:3], s[0:1], 0x38
	s_and_not1_b32 vcc_lo, exec_lo, s4
	s_mov_b64 s[28:29], 0
	s_cbranch_vccnz .LBB6_9
; %bb.8:
	s_lshl_b64 s[4:5], s[30:31], 3
	s_waitcnt lgkmcnt(0)
	s_add_u32 s4, s24, s4
	s_addc_u32 s5, s25, s5
	s_lshl_b64 s[24:25], s[26:27], 4
	s_load_b64 s[4:5], s[4:5], 0x0
	s_waitcnt lgkmcnt(0)
	s_add_u32 s28, s4, s24
	s_addc_u32 s29, s5, s25
.LBB6_9:
	s_lshl_b64 s[4:5], s[30:31], 3
	v_and_b32_e32 v10, 0x3ff, v0
	s_add_u32 s4, s6, s4
	s_addc_u32 s5, s7, s5
	v_bfe_u32 v0, v0, 10, 10
	s_load_b64 s[6:7], s[4:5], 0x0
	s_load_b64 s[4:5], s[0:1], 0x0
	s_lshl_b64 s[0:1], s[8:9], 4
	v_and_b32_e32 v13, 63, v10
	v_cmp_ne_u32_e32 vcc_lo, 1, v1
	v_lshl_add_u32 v11, v0, 6, v10
	s_waitcnt lgkmcnt(0)
	s_add_u32 s8, s6, s0
	s_addc_u32 s9, s7, s1
	s_lshl_b32 s15, s14, 6
	v_cmp_gt_u32_e64 s1, 64, v11
	v_or_b32_e32 v12, s15, v13
	s_delay_alu instid0(VALU_DEP_1)
	v_cmp_gt_i32_e64 s0, s5, v12
	s_cbranch_vccnz .LBB6_16
; %bb.10:
	s_delay_alu instid0(VALU_DEP_1)
	s_and_b32 s6, s1, s0
	s_mov_b32 s0, 0
	s_mov_b32 s14, 0
                                        ; implicit-def: $vgpr2_vgpr3
                                        ; implicit-def: $vgpr8_vgpr9
	s_and_saveexec_b32 s1, s6
	s_cbranch_execz .LBB6_17
; %bb.11:
	v_or_b32_e32 v0, s15, v10
	s_mov_b32 s7, 0
	s_mov_b32 s6, exec_lo
                                        ; implicit-def: $vgpr2_vgpr3
                                        ; implicit-def: $vgpr8_vgpr9
	s_delay_alu instid0(VALU_DEP_1)
	v_cmpx_gt_i32_e64 s5, v0
	s_cbranch_execz .LBB6_15
; %bb.12:
	v_cmp_neq_f64_e64 s7, s[16:17], 0
	v_cmp_neq_f64_e64 s14, s[18:19], 0
	v_ashrrev_i32_e32 v1, 31, v0
	v_mul_lo_u32 v4, v0, s11
	v_mad_u64_u32 v[8:9], null, v0, s10, 0
	v_mov_b32_e32 v2, 0
	s_delay_alu instid0(VALU_DEP_4) | instskip(SKIP_1) | instid1(VALU_DEP_2)
	v_mul_lo_u32 v0, v1, s10
	v_mov_b32_e32 v3, 0
	v_add3_u32 v9, v9, v4, v0
	s_delay_alu instid0(VALU_DEP_2) | instskip(SKIP_1) | instid1(SALU_CYCLE_1)
	v_dual_mov_b32 v0, v2 :: v_dual_mov_b32 v1, v3
	s_or_b32 s7, s7, s14
	s_and_not1_b32 vcc_lo, exec_lo, s7
	s_cbranch_vccnz .LBB6_14
; %bb.13:
	v_lshlrev_b64 v[0:1], 4, v[8:9]
	s_delay_alu instid0(VALU_DEP_1) | instskip(NEXT) | instid1(VALU_DEP_2)
	v_add_co_u32 v0, vcc_lo, s8, v0
	v_add_co_ci_u32_e32 v1, vcc_lo, s9, v1, vcc_lo
	global_load_b128 v[2:5], v[0:1], off
	s_waitcnt vmcnt(0)
	v_mul_f64 v[0:1], s[18:19], v[4:5]
	v_mul_f64 v[4:5], s[16:17], v[4:5]
	s_delay_alu instid0(VALU_DEP_2) | instskip(NEXT) | instid1(VALU_DEP_2)
	v_fma_f64 v[0:1], s[16:17], v[2:3], -v[0:1]
	v_fma_f64 v[2:3], s[18:19], v[2:3], v[4:5]
.LBB6_14:
	s_mov_b32 s7, exec_lo
.LBB6_15:
	s_or_b32 exec_lo, exec_lo, s6
	s_delay_alu instid0(SALU_CYCLE_1) | instskip(SKIP_1) | instid1(SALU_CYCLE_1)
	s_and_b32 s14, s7, exec_lo
	s_or_b32 exec_lo, exec_lo, s1
	s_and_b32 vcc_lo, exec_lo, s0
	s_cbranch_vccnz .LBB6_18
	s_branch .LBB6_33
.LBB6_16:
	s_mov_b32 s14, 0
                                        ; implicit-def: $vgpr2_vgpr3
                                        ; implicit-def: $vgpr8_vgpr9
	s_cbranch_execnz .LBB6_18
	s_branch .LBB6_33
.LBB6_17:
	s_or_b32 exec_lo, exec_lo, s1
	s_delay_alu instid0(SALU_CYCLE_1)
	s_and_b32 vcc_lo, exec_lo, s0
	s_cbranch_vccz .LBB6_33
.LBB6_18:
	v_mov_b32_e32 v2, 0
	v_mov_b32_e32 v3, 0
	v_lshrrev_b32_e32 v14, 6, v11
	s_delay_alu instid0(VALU_DEP_3) | instskip(SKIP_1) | instid1(VALU_DEP_3)
	v_mov_b32_e32 v0, v2
	s_mov_b32 s24, exec_lo
	v_mov_b32_e32 v1, v3
	s_delay_alu instid0(VALU_DEP_3)
	v_cmpx_gt_i32_e64 s5, v14
	s_cbranch_execz .LBB6_26
; %bb.19:
	v_lshrrev_b32_e32 v4, 6, v11
	s_bitcmp1_b32 s4, 0
	v_cmp_gt_i32_e32 vcc_lo, s5, v12
	s_cselect_b32 s0, -1, 0
	s_lshl_b32 s1, s5, 1
	v_mad_u64_u32 v[0:1], null, s2, v4, 0
	s_or_b32 s4, s1, 1
	s_lshl_b64 s[6:7], s[2:3], 8
	s_mov_b32 s25, 0
	s_xor_b32 s26, s0, -1
	s_delay_alu instid0(VALU_DEP_1) | instskip(NEXT) | instid1(VALU_DEP_1)
	v_mad_u64_u32 v[2:3], null, s3, v4, v[1:2]
	v_dual_mov_b32 v1, v2 :: v_dual_mov_b32 v2, 0
	v_mov_b32_e32 v3, 0
	v_add_nc_u32_e32 v15, s15, v13
	s_delay_alu instid0(VALU_DEP_3) | instskip(NEXT) | instid1(VALU_DEP_1)
	v_lshlrev_b64 v[0:1], 4, v[0:1]
	v_add_co_u32 v4, s1, s28, v0
	s_delay_alu instid0(VALU_DEP_1)
	v_add_co_ci_u32_e64 v5, s1, s29, v1, s1
	v_dual_mov_b32 v0, v2 :: v_dual_mov_b32 v1, v3
	s_branch .LBB6_22
.LBB6_20:                               ;   in Loop: Header=BB6_22 Depth=1
	s_or_b32 exec_lo, exec_lo, s3
	flat_load_b128 v[16:19], v[4:5]
	flat_load_b64 v[8:9], v[8:9]
	s_waitcnt vmcnt(1) lgkmcnt(1)
	v_mul_f64 v[20:21], v[6:7], v[18:19]
	s_waitcnt vmcnt(0) lgkmcnt(0)
	v_mul_f64 v[18:19], v[8:9], v[18:19]
	s_delay_alu instid0(VALU_DEP_2) | instskip(NEXT) | instid1(VALU_DEP_2)
	v_fma_f64 v[8:9], v[8:9], v[16:17], -v[20:21]
	v_fma_f64 v[6:7], v[6:7], v[16:17], v[18:19]
	s_delay_alu instid0(VALU_DEP_2) | instskip(NEXT) | instid1(VALU_DEP_2)
	v_add_f64 v[0:1], v[0:1], v[8:9]
	v_add_f64 v[2:3], v[2:3], v[6:7]
.LBB6_21:                               ;   in Loop: Header=BB6_22 Depth=1
	s_or_b32 exec_lo, exec_lo, s27
	v_add_nc_u32_e32 v14, 16, v14
	v_add_co_u32 v4, s2, v4, s6
	s_delay_alu instid0(VALU_DEP_1) | instskip(NEXT) | instid1(VALU_DEP_3)
	v_add_co_ci_u32_e64 v5, s2, s7, v5, s2
	v_cmp_le_i32_e64 s1, s5, v14
	s_delay_alu instid0(VALU_DEP_1) | instskip(NEXT) | instid1(SALU_CYCLE_1)
	s_or_b32 s25, s1, s25
	s_and_not1_b32 exec_lo, exec_lo, s25
	s_cbranch_execz .LBB6_25
.LBB6_22:                               ; =>This Inner Loop Header: Depth=1
	s_and_saveexec_b32 s27, vcc_lo
	s_cbranch_execz .LBB6_21
; %bb.23:                               ;   in Loop: Header=BB6_22 Depth=1
	v_cmp_le_i32_e64 s1, v12, v14
	v_cmp_ge_i32_e64 s2, v12, v14
	s_delay_alu instid0(VALU_DEP_2) | instskip(NEXT) | instid1(VALU_DEP_1)
	s_or_b32 s1, s1, s26
	s_or_b32 s2, s2, s0
	s_delay_alu instid0(SALU_CYCLE_1) | instskip(NEXT) | instid1(SALU_CYCLE_1)
	s_and_b32 s1, s1, s2
	v_cndmask_b32_e64 v9, v12, v14, s1
	v_cndmask_b32_e64 v8, v14, v12, s1
	s_delay_alu instid0(VALU_DEP_2) | instskip(SKIP_1) | instid1(VALU_DEP_1)
	v_sub_nc_u32_e32 v6, s4, v9
	v_add_nc_u32_e32 v7, 1, v9
	v_cndmask_b32_e64 v16, v6, v7, s0
	s_delay_alu instid0(VALU_DEP_1) | instskip(SKIP_1) | instid1(VALU_DEP_1)
	v_mad_i64_i32 v[6:7], null, v16, v9, 0
	v_cndmask_b32_e64 v9, v9, 0, s0
	v_sub_nc_u32_e32 v8, v8, v9
	s_delay_alu instid0(VALU_DEP_3) | instskip(NEXT) | instid1(VALU_DEP_2)
	v_lshrrev_b32_e32 v16, 31, v7
	v_ashrrev_i32_e32 v9, 31, v8
	s_delay_alu instid0(VALU_DEP_2) | instskip(NEXT) | instid1(VALU_DEP_1)
	v_add_co_u32 v6, s2, v6, v16
	v_add_co_ci_u32_e64 v7, s2, 0, v7, s2
	s_delay_alu instid0(VALU_DEP_3) | instskip(NEXT) | instid1(VALU_DEP_2)
	v_lshlrev_b64 v[8:9], 4, v[8:9]
	v_lshlrev_b64 v[6:7], 3, v[6:7]
	s_delay_alu instid0(VALU_DEP_1) | instskip(NEXT) | instid1(VALU_DEP_1)
	v_and_b32_e32 v6, -16, v6
	v_add_co_u32 v16, s3, s12, v6
	s_delay_alu instid0(VALU_DEP_1) | instskip(SKIP_1) | instid1(VALU_DEP_3)
	v_add_co_ci_u32_e64 v17, s3, s13, v7, s3
	v_mov_b32_e32 v6, 0
	v_add_co_u32 v8, s3, v16, v8
	v_mov_b32_e32 v7, 0
	s_delay_alu instid0(VALU_DEP_4)
	v_add_co_ci_u32_e64 v9, s3, v17, v9, s3
	s_mov_b32 s3, exec_lo
	v_cmpx_ne_u32_e64 v15, v14
	s_cbranch_execz .LBB6_20
; %bb.24:                               ;   in Loop: Header=BB6_22 Depth=1
	flat_load_b64 v[6:7], v[8:9] offset:8
	s_waitcnt vmcnt(0) lgkmcnt(0)
	v_xor_b32_e32 v16, 0x80000000, v7
	v_cndmask_b32_e64 v6, v6, v6, s1
	s_delay_alu instid0(VALU_DEP_2)
	v_cndmask_b32_e64 v7, v16, v7, s1
	s_branch .LBB6_20
.LBB6_25:
	s_or_b32 exec_lo, exec_lo, s25
.LBB6_26:
	s_delay_alu instid0(SALU_CYCLE_1) | instskip(SKIP_3) | instid1(VALU_DEP_3)
	s_or_b32 exec_lo, exec_lo, s24
	v_and_or_b32 v4, 0x1ffc0, v11, v13
	v_cmp_gt_u32_e32 vcc_lo, 64, v11
	v_cmp_gt_i32_e64 s0, s5, v12
                                        ; implicit-def: $vgpr8_vgpr9
	v_lshlrev_b32_e32 v4, 4, v4
	s_delay_alu instid0(VALU_DEP_2)
	s_and_b32 s1, vcc_lo, s0
	ds_store_b128 v4, v[0:3]
	s_waitcnt lgkmcnt(0)
	s_barrier
	buffer_gl0_inv
                                        ; implicit-def: $vgpr2_vgpr3
	s_and_saveexec_b32 s0, s1
	s_cbranch_execz .LBB6_32
; %bb.27:
	v_dual_mov_b32 v11, 0 :: v_dual_lshlrev_b32 v8, 4, v11
	v_lshlrev_b32_e32 v9, 4, v10
	v_or_b32_e32 v10, s15, v10
	s_ashr_i32 s3, s5, 31
	ds_load_b128 v[0:3], v8
	ds_load_b128 v[4:7], v9 offset:1024
	s_mov_b32 s2, s5
	s_delay_alu instid0(SALU_CYCLE_1)
	v_cmp_gt_i64_e32 vcc_lo, s[2:3], v[10:11]
	s_mov_b32 s2, s14
	s_waitcnt lgkmcnt(0)
	v_add_f64 v[0:1], v[0:1], v[4:5]
	v_add_f64 v[2:3], v[2:3], v[6:7]
	ds_store_b128 v8, v[0:3]
	ds_load_b128 v[4:7], v9 offset:2048
	s_waitcnt lgkmcnt(0)
	v_add_f64 v[0:1], v[0:1], v[4:5]
	v_add_f64 v[2:3], v[2:3], v[6:7]
	ds_store_b128 v8, v[0:3]
	ds_load_b128 v[4:7], v9 offset:3072
	;; [unrolled: 5-line block ×14, first 2 shown]
	s_waitcnt lgkmcnt(0)
	v_add_f64 v[4:5], v[0:1], v[4:5]
	v_add_f64 v[6:7], v[2:3], v[6:7]
                                        ; implicit-def: $vgpr2_vgpr3
	ds_store_b128 v8, v[4:7]
                                        ; implicit-def: $vgpr8_vgpr9
	s_and_saveexec_b32 s1, vcc_lo
	s_cbranch_execz .LBB6_31
; %bb.28:
	v_mul_f64 v[0:1], s[22:23], v[6:7]
	v_mul_f64 v[2:3], s[20:21], v[6:7]
	v_cmp_neq_f64_e64 s2, s[16:17], 0
	v_cmp_neq_f64_e64 s3, s[18:19], 0
	v_mad_u64_u32 v[8:9], null, v10, s10, 0
	v_fma_f64 v[0:1], s[20:21], v[4:5], -v[0:1]
	v_fma_f64 v[2:3], s[22:23], v[4:5], v[2:3]
	s_delay_alu instid0(VALU_DEP_3) | instskip(SKIP_1) | instid1(SALU_CYCLE_1)
	v_mov_b32_e32 v4, v9
	s_or_b32 s2, s2, s3
	s_and_not1_b32 vcc_lo, exec_lo, s2
	s_delay_alu instid0(VALU_DEP_1) | instskip(NEXT) | instid1(VALU_DEP_1)
	v_mad_u64_u32 v[5:6], null, v10, s11, v[4:5]
	v_mov_b32_e32 v9, v5
	s_cbranch_vccnz .LBB6_30
; %bb.29:
	s_delay_alu instid0(VALU_DEP_1) | instskip(NEXT) | instid1(VALU_DEP_1)
	v_lshlrev_b64 v[4:5], 4, v[8:9]
	v_add_co_u32 v4, vcc_lo, s8, v4
	s_delay_alu instid0(VALU_DEP_2) | instskip(SKIP_4) | instid1(VALU_DEP_2)
	v_add_co_ci_u32_e32 v5, vcc_lo, s9, v5, vcc_lo
	global_load_b128 v[4:7], v[4:5], off
	s_waitcnt vmcnt(0)
	v_mul_f64 v[10:11], s[18:19], v[6:7]
	v_mul_f64 v[6:7], s[16:17], v[6:7]
	v_fma_f64 v[10:11], s[16:17], v[4:5], -v[10:11]
	s_delay_alu instid0(VALU_DEP_2) | instskip(NEXT) | instid1(VALU_DEP_2)
	v_fma_f64 v[4:5], s[18:19], v[4:5], v[6:7]
	v_add_f64 v[0:1], v[0:1], v[10:11]
	s_delay_alu instid0(VALU_DEP_2)
	v_add_f64 v[2:3], v[2:3], v[4:5]
.LBB6_30:
	s_or_b32 s2, s14, exec_lo
.LBB6_31:
	s_or_b32 exec_lo, exec_lo, s1
	s_delay_alu instid0(SALU_CYCLE_1) | instskip(SKIP_1) | instid1(SALU_CYCLE_1)
	s_and_not1_b32 s1, s14, exec_lo
	s_and_b32 s2, s2, exec_lo
	s_or_b32 s14, s1, s2
.LBB6_32:
	s_or_b32 exec_lo, exec_lo, s0
.LBB6_33:
	s_and_saveexec_b32 s0, s14
	s_cbranch_execz .LBB6_35
; %bb.34:
	v_lshlrev_b64 v[4:5], 4, v[8:9]
	s_delay_alu instid0(VALU_DEP_1) | instskip(NEXT) | instid1(VALU_DEP_2)
	v_add_co_u32 v4, vcc_lo, s8, v4
	v_add_co_ci_u32_e32 v5, vcc_lo, s9, v5, vcc_lo
	global_store_b128 v[4:5], v[0:3], off
.LBB6_35:
	s_nop 0
	s_sendmsg sendmsg(MSG_DEALLOC_VGPRS)
	s_endpgm
	.section	.rodata,"a",@progbits
	.p2align	6, 0x0
	.amdhsa_kernel _ZL19rocblas_hpmv_kernelILi64ELi16EPK19rocblas_complex_numIdEPKS3_PKPS1_EvbiT1_T2_llSA_lllS9_T3_llli
		.amdhsa_group_segment_fixed_size 16384
		.amdhsa_private_segment_fixed_size 0
		.amdhsa_kernarg_size 116
		.amdhsa_user_sgpr_count 14
		.amdhsa_user_sgpr_dispatch_ptr 0
		.amdhsa_user_sgpr_queue_ptr 0
		.amdhsa_user_sgpr_kernarg_segment_ptr 1
		.amdhsa_user_sgpr_dispatch_id 0
		.amdhsa_user_sgpr_private_segment_size 0
		.amdhsa_wavefront_size32 1
		.amdhsa_uses_dynamic_stack 0
		.amdhsa_enable_private_segment 0
		.amdhsa_system_sgpr_workgroup_id_x 1
		.amdhsa_system_sgpr_workgroup_id_y 0
		.amdhsa_system_sgpr_workgroup_id_z 1
		.amdhsa_system_sgpr_workgroup_info 0
		.amdhsa_system_vgpr_workitem_id 1
		.amdhsa_next_free_vgpr 22
		.amdhsa_next_free_sgpr 32
		.amdhsa_reserve_vcc 1
		.amdhsa_float_round_mode_32 0
		.amdhsa_float_round_mode_16_64 0
		.amdhsa_float_denorm_mode_32 3
		.amdhsa_float_denorm_mode_16_64 3
		.amdhsa_dx10_clamp 1
		.amdhsa_ieee_mode 1
		.amdhsa_fp16_overflow 0
		.amdhsa_workgroup_processor_mode 1
		.amdhsa_memory_ordered 1
		.amdhsa_forward_progress 0
		.amdhsa_shared_vgpr_count 0
		.amdhsa_exception_fp_ieee_invalid_op 0
		.amdhsa_exception_fp_denorm_src 0
		.amdhsa_exception_fp_ieee_div_zero 0
		.amdhsa_exception_fp_ieee_overflow 0
		.amdhsa_exception_fp_ieee_underflow 0
		.amdhsa_exception_fp_ieee_inexact 0
		.amdhsa_exception_int_div_zero 0
	.end_amdhsa_kernel
	.section	.text._ZL19rocblas_hpmv_kernelILi64ELi16EPK19rocblas_complex_numIdEPKS3_PKPS1_EvbiT1_T2_llSA_lllS9_T3_llli,"axG",@progbits,_ZL19rocblas_hpmv_kernelILi64ELi16EPK19rocblas_complex_numIdEPKS3_PKPS1_EvbiT1_T2_llSA_lllS9_T3_llli,comdat
.Lfunc_end6:
	.size	_ZL19rocblas_hpmv_kernelILi64ELi16EPK19rocblas_complex_numIdEPKS3_PKPS1_EvbiT1_T2_llSA_lllS9_T3_llli, .Lfunc_end6-_ZL19rocblas_hpmv_kernelILi64ELi16EPK19rocblas_complex_numIdEPKS3_PKPS1_EvbiT1_T2_llSA_lllS9_T3_llli
                                        ; -- End function
	.section	.AMDGPU.csdata,"",@progbits
; Kernel info:
; codeLenInByte = 2176
; NumSgprs: 34
; NumVgprs: 22
; ScratchSize: 0
; MemoryBound: 0
; FloatMode: 240
; IeeeMode: 1
; LDSByteSize: 16384 bytes/workgroup (compile time only)
; SGPRBlocks: 4
; VGPRBlocks: 2
; NumSGPRsForWavesPerEU: 34
; NumVGPRsForWavesPerEU: 22
; Occupancy: 16
; WaveLimiterHint : 1
; COMPUTE_PGM_RSRC2:SCRATCH_EN: 0
; COMPUTE_PGM_RSRC2:USER_SGPR: 14
; COMPUTE_PGM_RSRC2:TRAP_HANDLER: 0
; COMPUTE_PGM_RSRC2:TGID_X_EN: 1
; COMPUTE_PGM_RSRC2:TGID_Y_EN: 0
; COMPUTE_PGM_RSRC2:TGID_Z_EN: 1
; COMPUTE_PGM_RSRC2:TIDIG_COMP_CNT: 1
	.section	.text._ZL19rocblas_hpmv_kernelILi64ELi16E19rocblas_complex_numIdEPKPKS1_PKPS1_EvbiT1_T2_llSA_lllS9_T3_llli,"axG",@progbits,_ZL19rocblas_hpmv_kernelILi64ELi16E19rocblas_complex_numIdEPKPKS1_PKPS1_EvbiT1_T2_llSA_lllS9_T3_llli,comdat
	.globl	_ZL19rocblas_hpmv_kernelILi64ELi16E19rocblas_complex_numIdEPKPKS1_PKPS1_EvbiT1_T2_llSA_lllS9_T3_llli ; -- Begin function _ZL19rocblas_hpmv_kernelILi64ELi16E19rocblas_complex_numIdEPKPKS1_PKPS1_EvbiT1_T2_llSA_lllS9_T3_llli
	.p2align	8
	.type	_ZL19rocblas_hpmv_kernelILi64ELi16E19rocblas_complex_numIdEPKPKS1_PKPS1_EvbiT1_T2_llSA_lllS9_T3_llli,@function
_ZL19rocblas_hpmv_kernelILi64ELi16E19rocblas_complex_numIdEPKPKS1_PKPS1_EvbiT1_T2_llSA_lllS9_T3_llli: ; @_ZL19rocblas_hpmv_kernelILi64ELi16E19rocblas_complex_numIdEPKPKS1_PKPS1_EvbiT1_T2_llSA_lllS9_T3_llli
; %bb.0:
	s_clause 0x1
	s_load_b256 s[16:23], s[0:1], 0x8
	s_load_b256 s[4:11], s[0:1], 0x50
	s_mov_b32 s28, s15
	s_waitcnt lgkmcnt(0)
	v_cmp_neq_f64_e64 s2, s[16:17], 0
	v_cmp_neq_f64_e64 s3, s[18:19], 0
	s_delay_alu instid0(VALU_DEP_1)
	s_or_b32 s15, s2, s3
	s_mov_b32 s2, -1
	s_and_b32 vcc_lo, exec_lo, s15
	s_cbranch_vccnz .LBB7_2
; %bb.1:
	v_cmp_neq_f64_e64 s2, s[4:5], 1.0
	v_cmp_neq_f64_e64 s3, s[6:7], 0
	s_delay_alu instid0(VALU_DEP_1)
	s_or_b32 s2, s2, s3
.LBB7_2:
	s_delay_alu instid0(SALU_CYCLE_1)
	s_and_not1_b32 vcc_lo, exec_lo, s2
	s_cbranch_vccnz .LBB7_35
; %bb.3:
	s_load_b64 s[12:13], s[0:1], 0x70
	s_xor_b32 s2, s15, -1
	s_delay_alu instid0(SALU_CYCLE_1)
	v_cndmask_b32_e64 v1, 0, 1, s2
	s_and_not1_b32 vcc_lo, exec_lo, s2
	s_cbranch_vccnz .LBB7_5
; %bb.4:
	s_mov_b32 s29, 0
	s_mov_b64 s[24:25], 0
	s_cbranch_execz .LBB7_6
	s_branch .LBB7_7
.LBB7_5:
	s_mov_b32 s29, -1
                                        ; implicit-def: $sgpr24_sgpr25
.LBB7_6:
	s_mov_b32 s29, 0
	s_delay_alu instid0(SALU_CYCLE_1) | instskip(NEXT) | instid1(SALU_CYCLE_1)
	s_lshl_b64 s[2:3], s[28:29], 3
	s_add_u32 s2, s20, s2
	s_addc_u32 s3, s21, s3
	s_lshl_b64 s[20:21], s[22:23], 4
	s_load_b64 s[2:3], s[2:3], 0x0
	s_waitcnt lgkmcnt(0)
	s_add_u32 s24, s2, s20
	s_addc_u32 s25, s3, s21
.LBB7_7:
	s_clause 0x1
	s_load_b128 s[20:23], s[0:1], 0x30
	s_load_b64 s[2:3], s[0:1], 0x40
	s_and_not1_b32 vcc_lo, exec_lo, s15
	s_mov_b64 s[26:27], 0
	s_cbranch_vccnz .LBB7_9
; %bb.8:
	s_lshl_b64 s[26:27], s[28:29], 3
	s_waitcnt lgkmcnt(0)
	s_add_u32 s20, s20, s26
	s_addc_u32 s21, s21, s27
	s_lshl_b64 s[22:23], s[22:23], 4
	s_load_b64 s[20:21], s[20:21], 0x0
	s_waitcnt lgkmcnt(0)
	s_add_u32 s26, s20, s22
	s_addc_u32 s27, s21, s23
.LBB7_9:
	s_waitcnt lgkmcnt(0)
	s_lshl_b64 s[20:21], s[28:29], 3
	v_and_b32_e32 v10, 0x3ff, v0
	s_add_u32 s8, s8, s20
	s_addc_u32 s9, s9, s21
	v_bfe_u32 v0, v0, 10, 10
	s_load_b64 s[20:21], s[8:9], 0x0
	s_load_b64 s[8:9], s[0:1], 0x0
	s_lshl_b64 s[0:1], s[10:11], 4
	v_and_b32_e32 v13, 63, v10
	v_cmp_ne_u32_e32 vcc_lo, 1, v1
	v_lshl_add_u32 v11, v0, 6, v10
	s_waitcnt lgkmcnt(0)
	s_add_u32 s15, s20, s0
	s_addc_u32 s20, s21, s1
	s_lshl_b32 s21, s14, 6
	v_cmp_gt_u32_e64 s1, 64, v11
	v_or_b32_e32 v12, s21, v13
	s_delay_alu instid0(VALU_DEP_1)
	v_cmp_gt_i32_e64 s0, s9, v12
	s_cbranch_vccnz .LBB7_16
; %bb.10:
	s_delay_alu instid0(VALU_DEP_1)
	s_and_b32 s10, s1, s0
	s_mov_b32 s0, 0
	s_mov_b32 s14, 0
                                        ; implicit-def: $vgpr2_vgpr3
                                        ; implicit-def: $vgpr8_vgpr9
	s_and_saveexec_b32 s1, s10
	s_cbranch_execz .LBB7_17
; %bb.11:
	v_or_b32_e32 v0, s21, v10
	s_mov_b32 s11, 0
	s_mov_b32 s10, exec_lo
                                        ; implicit-def: $vgpr2_vgpr3
                                        ; implicit-def: $vgpr8_vgpr9
	s_delay_alu instid0(VALU_DEP_1)
	v_cmpx_gt_i32_e64 s9, v0
	s_cbranch_execz .LBB7_15
; %bb.12:
	v_cmp_neq_f64_e64 s11, s[4:5], 0
	v_cmp_neq_f64_e64 s14, s[6:7], 0
	v_ashrrev_i32_e32 v1, 31, v0
	v_mul_lo_u32 v4, v0, s13
	v_mad_u64_u32 v[8:9], null, v0, s12, 0
	v_mov_b32_e32 v2, 0
	s_delay_alu instid0(VALU_DEP_4) | instskip(SKIP_1) | instid1(VALU_DEP_2)
	v_mul_lo_u32 v0, v1, s12
	v_mov_b32_e32 v3, 0
	v_add3_u32 v9, v9, v4, v0
	s_delay_alu instid0(VALU_DEP_2) | instskip(SKIP_1) | instid1(SALU_CYCLE_1)
	v_dual_mov_b32 v0, v2 :: v_dual_mov_b32 v1, v3
	s_or_b32 s11, s11, s14
	s_and_not1_b32 vcc_lo, exec_lo, s11
	s_cbranch_vccnz .LBB7_14
; %bb.13:
	v_lshlrev_b64 v[0:1], 4, v[8:9]
	s_delay_alu instid0(VALU_DEP_1) | instskip(NEXT) | instid1(VALU_DEP_2)
	v_add_co_u32 v0, vcc_lo, s15, v0
	v_add_co_ci_u32_e32 v1, vcc_lo, s20, v1, vcc_lo
	global_load_b128 v[2:5], v[0:1], off
	s_waitcnt vmcnt(0)
	v_mul_f64 v[0:1], s[6:7], v[4:5]
	v_mul_f64 v[4:5], s[4:5], v[4:5]
	s_delay_alu instid0(VALU_DEP_2) | instskip(NEXT) | instid1(VALU_DEP_2)
	v_fma_f64 v[0:1], s[4:5], v[2:3], -v[0:1]
	v_fma_f64 v[2:3], s[6:7], v[2:3], v[4:5]
.LBB7_14:
	s_mov_b32 s11, exec_lo
.LBB7_15:
	s_or_b32 exec_lo, exec_lo, s10
	s_delay_alu instid0(SALU_CYCLE_1) | instskip(SKIP_1) | instid1(SALU_CYCLE_1)
	s_and_b32 s14, s11, exec_lo
	s_or_b32 exec_lo, exec_lo, s1
	s_and_b32 vcc_lo, exec_lo, s0
	s_cbranch_vccnz .LBB7_18
	s_branch .LBB7_33
.LBB7_16:
	s_mov_b32 s14, 0
                                        ; implicit-def: $vgpr2_vgpr3
                                        ; implicit-def: $vgpr8_vgpr9
	s_cbranch_execnz .LBB7_18
	s_branch .LBB7_33
.LBB7_17:
	s_or_b32 exec_lo, exec_lo, s1
	s_delay_alu instid0(SALU_CYCLE_1)
	s_and_b32 vcc_lo, exec_lo, s0
	s_cbranch_vccz .LBB7_33
.LBB7_18:
	v_mov_b32_e32 v2, 0
	v_mov_b32_e32 v3, 0
	v_lshrrev_b32_e32 v14, 6, v11
	s_delay_alu instid0(VALU_DEP_3) | instskip(SKIP_1) | instid1(VALU_DEP_3)
	v_mov_b32_e32 v0, v2
	s_mov_b32 s22, exec_lo
	v_mov_b32_e32 v1, v3
	s_delay_alu instid0(VALU_DEP_3)
	v_cmpx_gt_i32_e64 s9, v14
	s_cbranch_execz .LBB7_26
; %bb.19:
	v_lshrrev_b32_e32 v4, 6, v11
	s_bitcmp1_b32 s8, 0
	v_cmp_gt_i32_e32 vcc_lo, s9, v12
	s_cselect_b32 s0, -1, 0
	s_lshl_b32 s1, s9, 1
	v_mad_u64_u32 v[0:1], null, s2, v4, 0
	s_or_b32 s8, s1, 1
	s_lshl_b64 s[10:11], s[2:3], 8
	s_mov_b32 s23, 0
	s_delay_alu instid0(VALU_DEP_1) | instskip(NEXT) | instid1(VALU_DEP_1)
	v_mad_u64_u32 v[2:3], null, s3, v4, v[1:2]
	v_dual_mov_b32 v1, v2 :: v_dual_mov_b32 v2, 0
	v_mov_b32_e32 v3, 0
	v_add_nc_u32_e32 v15, s21, v13
	s_delay_alu instid0(VALU_DEP_3) | instskip(NEXT) | instid1(VALU_DEP_1)
	v_lshlrev_b64 v[0:1], 4, v[0:1]
	v_add_co_u32 v4, s1, s26, v0
	s_delay_alu instid0(VALU_DEP_1)
	v_add_co_ci_u32_e64 v5, s1, s27, v1, s1
	v_dual_mov_b32 v0, v2 :: v_dual_mov_b32 v1, v3
	s_xor_b32 s26, s0, -1
	s_branch .LBB7_22
.LBB7_20:                               ;   in Loop: Header=BB7_22 Depth=1
	s_or_b32 exec_lo, exec_lo, s3
	flat_load_b128 v[16:19], v[4:5]
	flat_load_b64 v[8:9], v[8:9]
	s_waitcnt vmcnt(1) lgkmcnt(1)
	v_mul_f64 v[20:21], v[6:7], v[18:19]
	s_waitcnt vmcnt(0) lgkmcnt(0)
	v_mul_f64 v[18:19], v[8:9], v[18:19]
	s_delay_alu instid0(VALU_DEP_2) | instskip(NEXT) | instid1(VALU_DEP_2)
	v_fma_f64 v[8:9], v[8:9], v[16:17], -v[20:21]
	v_fma_f64 v[6:7], v[6:7], v[16:17], v[18:19]
	s_delay_alu instid0(VALU_DEP_2) | instskip(NEXT) | instid1(VALU_DEP_2)
	v_add_f64 v[0:1], v[0:1], v[8:9]
	v_add_f64 v[2:3], v[2:3], v[6:7]
.LBB7_21:                               ;   in Loop: Header=BB7_22 Depth=1
	s_or_b32 exec_lo, exec_lo, s27
	v_add_nc_u32_e32 v14, 16, v14
	v_add_co_u32 v4, s2, v4, s10
	s_delay_alu instid0(VALU_DEP_1) | instskip(NEXT) | instid1(VALU_DEP_3)
	v_add_co_ci_u32_e64 v5, s2, s11, v5, s2
	v_cmp_le_i32_e64 s1, s9, v14
	s_delay_alu instid0(VALU_DEP_1) | instskip(NEXT) | instid1(SALU_CYCLE_1)
	s_or_b32 s23, s1, s23
	s_and_not1_b32 exec_lo, exec_lo, s23
	s_cbranch_execz .LBB7_25
.LBB7_22:                               ; =>This Inner Loop Header: Depth=1
	s_and_saveexec_b32 s27, vcc_lo
	s_cbranch_execz .LBB7_21
; %bb.23:                               ;   in Loop: Header=BB7_22 Depth=1
	v_cmp_le_i32_e64 s1, v12, v14
	v_cmp_ge_i32_e64 s2, v12, v14
	s_delay_alu instid0(VALU_DEP_2) | instskip(NEXT) | instid1(VALU_DEP_1)
	s_or_b32 s1, s1, s26
	s_or_b32 s2, s2, s0
	s_delay_alu instid0(SALU_CYCLE_1) | instskip(NEXT) | instid1(SALU_CYCLE_1)
	s_and_b32 s1, s1, s2
	v_cndmask_b32_e64 v9, v12, v14, s1
	v_cndmask_b32_e64 v8, v14, v12, s1
	s_delay_alu instid0(VALU_DEP_2) | instskip(SKIP_1) | instid1(VALU_DEP_1)
	v_sub_nc_u32_e32 v6, s8, v9
	v_add_nc_u32_e32 v7, 1, v9
	v_cndmask_b32_e64 v16, v6, v7, s0
	s_delay_alu instid0(VALU_DEP_1) | instskip(SKIP_1) | instid1(VALU_DEP_1)
	v_mad_i64_i32 v[6:7], null, v16, v9, 0
	v_cndmask_b32_e64 v9, v9, 0, s0
	v_sub_nc_u32_e32 v8, v8, v9
	s_delay_alu instid0(VALU_DEP_3) | instskip(NEXT) | instid1(VALU_DEP_2)
	v_lshrrev_b32_e32 v16, 31, v7
	v_ashrrev_i32_e32 v9, 31, v8
	s_delay_alu instid0(VALU_DEP_2) | instskip(NEXT) | instid1(VALU_DEP_1)
	v_add_co_u32 v6, s2, v6, v16
	v_add_co_ci_u32_e64 v7, s2, 0, v7, s2
	s_delay_alu instid0(VALU_DEP_3) | instskip(NEXT) | instid1(VALU_DEP_2)
	v_lshlrev_b64 v[8:9], 4, v[8:9]
	v_lshlrev_b64 v[6:7], 3, v[6:7]
	s_delay_alu instid0(VALU_DEP_1) | instskip(NEXT) | instid1(VALU_DEP_1)
	v_and_b32_e32 v6, -16, v6
	v_add_co_u32 v16, s3, s24, v6
	s_delay_alu instid0(VALU_DEP_1) | instskip(SKIP_1) | instid1(VALU_DEP_3)
	v_add_co_ci_u32_e64 v17, s3, s25, v7, s3
	v_mov_b32_e32 v6, 0
	v_add_co_u32 v8, s3, v16, v8
	v_mov_b32_e32 v7, 0
	s_delay_alu instid0(VALU_DEP_4)
	v_add_co_ci_u32_e64 v9, s3, v17, v9, s3
	s_mov_b32 s3, exec_lo
	v_cmpx_ne_u32_e64 v15, v14
	s_cbranch_execz .LBB7_20
; %bb.24:                               ;   in Loop: Header=BB7_22 Depth=1
	flat_load_b64 v[6:7], v[8:9] offset:8
	s_waitcnt vmcnt(0) lgkmcnt(0)
	v_xor_b32_e32 v16, 0x80000000, v7
	v_cndmask_b32_e64 v6, v6, v6, s1
	s_delay_alu instid0(VALU_DEP_2)
	v_cndmask_b32_e64 v7, v16, v7, s1
	s_branch .LBB7_20
.LBB7_25:
	s_or_b32 exec_lo, exec_lo, s23
.LBB7_26:
	s_delay_alu instid0(SALU_CYCLE_1) | instskip(SKIP_3) | instid1(VALU_DEP_3)
	s_or_b32 exec_lo, exec_lo, s22
	v_and_or_b32 v4, 0x1ffc0, v11, v13
	v_cmp_gt_u32_e32 vcc_lo, 64, v11
	v_cmp_gt_i32_e64 s0, s9, v12
                                        ; implicit-def: $vgpr8_vgpr9
	v_lshlrev_b32_e32 v4, 4, v4
	s_delay_alu instid0(VALU_DEP_2)
	s_and_b32 s1, vcc_lo, s0
	ds_store_b128 v4, v[0:3]
	s_waitcnt lgkmcnt(0)
	s_barrier
	buffer_gl0_inv
                                        ; implicit-def: $vgpr2_vgpr3
	s_and_saveexec_b32 s0, s1
	s_cbranch_execz .LBB7_32
; %bb.27:
	v_dual_mov_b32 v11, 0 :: v_dual_lshlrev_b32 v8, 4, v11
	v_lshlrev_b32_e32 v9, 4, v10
	v_or_b32_e32 v10, s21, v10
	s_ashr_i32 s3, s9, 31
	ds_load_b128 v[0:3], v8
	ds_load_b128 v[4:7], v9 offset:1024
	s_mov_b32 s2, s9
	s_delay_alu instid0(SALU_CYCLE_1)
	v_cmp_gt_i64_e32 vcc_lo, s[2:3], v[10:11]
	s_mov_b32 s2, s14
	s_waitcnt lgkmcnt(0)
	v_add_f64 v[0:1], v[0:1], v[4:5]
	v_add_f64 v[2:3], v[2:3], v[6:7]
	ds_store_b128 v8, v[0:3]
	ds_load_b128 v[4:7], v9 offset:2048
	s_waitcnt lgkmcnt(0)
	v_add_f64 v[0:1], v[0:1], v[4:5]
	v_add_f64 v[2:3], v[2:3], v[6:7]
	ds_store_b128 v8, v[0:3]
	ds_load_b128 v[4:7], v9 offset:3072
	s_waitcnt lgkmcnt(0)
	v_add_f64 v[0:1], v[0:1], v[4:5]
	v_add_f64 v[2:3], v[2:3], v[6:7]
	ds_store_b128 v8, v[0:3]
	ds_load_b128 v[4:7], v9 offset:4096
	s_waitcnt lgkmcnt(0)
	v_add_f64 v[0:1], v[0:1], v[4:5]
	v_add_f64 v[2:3], v[2:3], v[6:7]
	ds_store_b128 v8, v[0:3]
	ds_load_b128 v[4:7], v9 offset:5120
	s_waitcnt lgkmcnt(0)
	v_add_f64 v[0:1], v[0:1], v[4:5]
	v_add_f64 v[2:3], v[2:3], v[6:7]
	ds_store_b128 v8, v[0:3]
	ds_load_b128 v[4:7], v9 offset:6144
	s_waitcnt lgkmcnt(0)
	v_add_f64 v[0:1], v[0:1], v[4:5]
	v_add_f64 v[2:3], v[2:3], v[6:7]
	ds_store_b128 v8, v[0:3]
	ds_load_b128 v[4:7], v9 offset:7168
	s_waitcnt lgkmcnt(0)
	v_add_f64 v[0:1], v[0:1], v[4:5]
	v_add_f64 v[2:3], v[2:3], v[6:7]
	ds_store_b128 v8, v[0:3]
	ds_load_b128 v[4:7], v9 offset:8192
	s_waitcnt lgkmcnt(0)
	v_add_f64 v[0:1], v[0:1], v[4:5]
	v_add_f64 v[2:3], v[2:3], v[6:7]
	ds_store_b128 v8, v[0:3]
	ds_load_b128 v[4:7], v9 offset:9216
	s_waitcnt lgkmcnt(0)
	v_add_f64 v[0:1], v[0:1], v[4:5]
	v_add_f64 v[2:3], v[2:3], v[6:7]
	ds_store_b128 v8, v[0:3]
	ds_load_b128 v[4:7], v9 offset:10240
	s_waitcnt lgkmcnt(0)
	v_add_f64 v[0:1], v[0:1], v[4:5]
	v_add_f64 v[2:3], v[2:3], v[6:7]
	ds_store_b128 v8, v[0:3]
	ds_load_b128 v[4:7], v9 offset:11264
	s_waitcnt lgkmcnt(0)
	v_add_f64 v[0:1], v[0:1], v[4:5]
	v_add_f64 v[2:3], v[2:3], v[6:7]
	ds_store_b128 v8, v[0:3]
	ds_load_b128 v[4:7], v9 offset:12288
	s_waitcnt lgkmcnt(0)
	v_add_f64 v[0:1], v[0:1], v[4:5]
	v_add_f64 v[2:3], v[2:3], v[6:7]
	ds_store_b128 v8, v[0:3]
	ds_load_b128 v[4:7], v9 offset:13312
	s_waitcnt lgkmcnt(0)
	v_add_f64 v[0:1], v[0:1], v[4:5]
	v_add_f64 v[2:3], v[2:3], v[6:7]
	ds_store_b128 v8, v[0:3]
	ds_load_b128 v[4:7], v9 offset:14336
	s_waitcnt lgkmcnt(0)
	v_add_f64 v[0:1], v[0:1], v[4:5]
	v_add_f64 v[2:3], v[2:3], v[6:7]
	ds_store_b128 v8, v[0:3]
	ds_load_b128 v[4:7], v9 offset:15360
	s_waitcnt lgkmcnt(0)
	v_add_f64 v[4:5], v[0:1], v[4:5]
	v_add_f64 v[6:7], v[2:3], v[6:7]
                                        ; implicit-def: $vgpr2_vgpr3
	ds_store_b128 v8, v[4:7]
                                        ; implicit-def: $vgpr8_vgpr9
	s_and_saveexec_b32 s1, vcc_lo
	s_cbranch_execz .LBB7_31
; %bb.28:
	v_mul_f64 v[0:1], s[18:19], v[6:7]
	v_mul_f64 v[2:3], s[16:17], v[6:7]
	v_cmp_neq_f64_e64 s2, s[4:5], 0
	v_cmp_neq_f64_e64 s3, s[6:7], 0
	v_mad_u64_u32 v[8:9], null, v10, s12, 0
	v_fma_f64 v[0:1], s[16:17], v[4:5], -v[0:1]
	v_fma_f64 v[2:3], s[18:19], v[4:5], v[2:3]
	s_delay_alu instid0(VALU_DEP_3) | instskip(SKIP_1) | instid1(SALU_CYCLE_1)
	v_mov_b32_e32 v4, v9
	s_or_b32 s2, s2, s3
	s_and_not1_b32 vcc_lo, exec_lo, s2
	s_delay_alu instid0(VALU_DEP_1) | instskip(NEXT) | instid1(VALU_DEP_1)
	v_mad_u64_u32 v[5:6], null, v10, s13, v[4:5]
	v_mov_b32_e32 v9, v5
	s_cbranch_vccnz .LBB7_30
; %bb.29:
	s_delay_alu instid0(VALU_DEP_1) | instskip(NEXT) | instid1(VALU_DEP_1)
	v_lshlrev_b64 v[4:5], 4, v[8:9]
	v_add_co_u32 v4, vcc_lo, s15, v4
	s_delay_alu instid0(VALU_DEP_2) | instskip(SKIP_4) | instid1(VALU_DEP_2)
	v_add_co_ci_u32_e32 v5, vcc_lo, s20, v5, vcc_lo
	global_load_b128 v[4:7], v[4:5], off
	s_waitcnt vmcnt(0)
	v_mul_f64 v[10:11], s[6:7], v[6:7]
	v_mul_f64 v[6:7], s[4:5], v[6:7]
	v_fma_f64 v[10:11], s[4:5], v[4:5], -v[10:11]
	s_delay_alu instid0(VALU_DEP_2) | instskip(NEXT) | instid1(VALU_DEP_2)
	v_fma_f64 v[4:5], s[6:7], v[4:5], v[6:7]
	v_add_f64 v[0:1], v[0:1], v[10:11]
	s_delay_alu instid0(VALU_DEP_2)
	v_add_f64 v[2:3], v[2:3], v[4:5]
.LBB7_30:
	s_or_b32 s2, s14, exec_lo
.LBB7_31:
	s_or_b32 exec_lo, exec_lo, s1
	s_delay_alu instid0(SALU_CYCLE_1) | instskip(SKIP_1) | instid1(SALU_CYCLE_1)
	s_and_not1_b32 s1, s14, exec_lo
	s_and_b32 s2, s2, exec_lo
	s_or_b32 s14, s1, s2
.LBB7_32:
	s_or_b32 exec_lo, exec_lo, s0
.LBB7_33:
	s_and_saveexec_b32 s0, s14
	s_cbranch_execz .LBB7_35
; %bb.34:
	v_lshlrev_b64 v[4:5], 4, v[8:9]
	s_delay_alu instid0(VALU_DEP_1) | instskip(NEXT) | instid1(VALU_DEP_2)
	v_add_co_u32 v4, vcc_lo, s15, v4
	v_add_co_ci_u32_e32 v5, vcc_lo, s20, v5, vcc_lo
	global_store_b128 v[4:5], v[0:3], off
.LBB7_35:
	s_nop 0
	s_sendmsg sendmsg(MSG_DEALLOC_VGPRS)
	s_endpgm
	.section	.rodata,"a",@progbits
	.p2align	6, 0x0
	.amdhsa_kernel _ZL19rocblas_hpmv_kernelILi64ELi16E19rocblas_complex_numIdEPKPKS1_PKPS1_EvbiT1_T2_llSA_lllS9_T3_llli
		.amdhsa_group_segment_fixed_size 16384
		.amdhsa_private_segment_fixed_size 0
		.amdhsa_kernarg_size 132
		.amdhsa_user_sgpr_count 14
		.amdhsa_user_sgpr_dispatch_ptr 0
		.amdhsa_user_sgpr_queue_ptr 0
		.amdhsa_user_sgpr_kernarg_segment_ptr 1
		.amdhsa_user_sgpr_dispatch_id 0
		.amdhsa_user_sgpr_private_segment_size 0
		.amdhsa_wavefront_size32 1
		.amdhsa_uses_dynamic_stack 0
		.amdhsa_enable_private_segment 0
		.amdhsa_system_sgpr_workgroup_id_x 1
		.amdhsa_system_sgpr_workgroup_id_y 0
		.amdhsa_system_sgpr_workgroup_id_z 1
		.amdhsa_system_sgpr_workgroup_info 0
		.amdhsa_system_vgpr_workitem_id 1
		.amdhsa_next_free_vgpr 22
		.amdhsa_next_free_sgpr 30
		.amdhsa_reserve_vcc 1
		.amdhsa_float_round_mode_32 0
		.amdhsa_float_round_mode_16_64 0
		.amdhsa_float_denorm_mode_32 3
		.amdhsa_float_denorm_mode_16_64 3
		.amdhsa_dx10_clamp 1
		.amdhsa_ieee_mode 1
		.amdhsa_fp16_overflow 0
		.amdhsa_workgroup_processor_mode 1
		.amdhsa_memory_ordered 1
		.amdhsa_forward_progress 0
		.amdhsa_shared_vgpr_count 0
		.amdhsa_exception_fp_ieee_invalid_op 0
		.amdhsa_exception_fp_denorm_src 0
		.amdhsa_exception_fp_ieee_div_zero 0
		.amdhsa_exception_fp_ieee_overflow 0
		.amdhsa_exception_fp_ieee_underflow 0
		.amdhsa_exception_fp_ieee_inexact 0
		.amdhsa_exception_int_div_zero 0
	.end_amdhsa_kernel
	.section	.text._ZL19rocblas_hpmv_kernelILi64ELi16E19rocblas_complex_numIdEPKPKS1_PKPS1_EvbiT1_T2_llSA_lllS9_T3_llli,"axG",@progbits,_ZL19rocblas_hpmv_kernelILi64ELi16E19rocblas_complex_numIdEPKPKS1_PKPS1_EvbiT1_T2_llSA_lllS9_T3_llli,comdat
.Lfunc_end7:
	.size	_ZL19rocblas_hpmv_kernelILi64ELi16E19rocblas_complex_numIdEPKPKS1_PKPS1_EvbiT1_T2_llSA_lllS9_T3_llli, .Lfunc_end7-_ZL19rocblas_hpmv_kernelILi64ELi16E19rocblas_complex_numIdEPKPKS1_PKPS1_EvbiT1_T2_llSA_lllS9_T3_llli
                                        ; -- End function
	.section	.AMDGPU.csdata,"",@progbits
; Kernel info:
; codeLenInByte = 2160
; NumSgprs: 32
; NumVgprs: 22
; ScratchSize: 0
; MemoryBound: 0
; FloatMode: 240
; IeeeMode: 1
; LDSByteSize: 16384 bytes/workgroup (compile time only)
; SGPRBlocks: 3
; VGPRBlocks: 2
; NumSGPRsForWavesPerEU: 32
; NumVGPRsForWavesPerEU: 22
; Occupancy: 16
; WaveLimiterHint : 1
; COMPUTE_PGM_RSRC2:SCRATCH_EN: 0
; COMPUTE_PGM_RSRC2:USER_SGPR: 14
; COMPUTE_PGM_RSRC2:TRAP_HANDLER: 0
; COMPUTE_PGM_RSRC2:TGID_X_EN: 1
; COMPUTE_PGM_RSRC2:TGID_Y_EN: 0
; COMPUTE_PGM_RSRC2:TGID_Z_EN: 1
; COMPUTE_PGM_RSRC2:TIDIG_COMP_CNT: 1
	.text
	.p2alignl 7, 3214868480
	.fill 96, 4, 3214868480
	.type	__hip_cuid_d042266bda795d6c,@object ; @__hip_cuid_d042266bda795d6c
	.section	.bss,"aw",@nobits
	.globl	__hip_cuid_d042266bda795d6c
__hip_cuid_d042266bda795d6c:
	.byte	0                               ; 0x0
	.size	__hip_cuid_d042266bda795d6c, 1

	.ident	"AMD clang version 19.0.0git (https://github.com/RadeonOpenCompute/llvm-project roc-6.4.0 25133 c7fe45cf4b819c5991fe208aaa96edf142730f1d)"
	.section	".note.GNU-stack","",@progbits
	.addrsig
	.addrsig_sym __hip_cuid_d042266bda795d6c
	.amdgpu_metadata
---
amdhsa.kernels:
  - .args:
      - .offset:         0
        .size:           1
        .value_kind:     by_value
      - .offset:         4
        .size:           4
        .value_kind:     by_value
      - .address_space:  global
        .offset:         8
        .size:           8
        .value_kind:     global_buffer
      - .address_space:  global
        .offset:         16
        .size:           8
        .value_kind:     global_buffer
      - .offset:         24
        .size:           8
        .value_kind:     by_value
      - .offset:         32
        .size:           8
        .value_kind:     by_value
      - .address_space:  global
        .offset:         40
        .size:           8
        .value_kind:     global_buffer
      - .offset:         48
        .size:           8
        .value_kind:     by_value
      - .offset:         56
        .size:           8
        .value_kind:     by_value
      - .offset:         64
        .size:           8
        .value_kind:     by_value
      - .address_space:  global
        .offset:         72
        .size:           8
        .value_kind:     global_buffer
      - .address_space:  global
        .offset:         80
        .size:           8
        .value_kind:     global_buffer
      - .offset:         88
        .size:           8
        .value_kind:     by_value
      - .offset:         96
        .size:           8
        .value_kind:     by_value
      - .offset:         104
        .size:           8
        .value_kind:     by_value
      - .offset:         112
        .size:           4
        .value_kind:     by_value
    .group_segment_fixed_size: 8192
    .kernarg_segment_align: 8
    .kernarg_segment_size: 116
    .language:       OpenCL C
    .language_version:
      - 2
      - 0
    .max_flat_workgroup_size: 1024
    .name:           _ZL19rocblas_hpmv_kernelILi64ELi16EPK19rocblas_complex_numIfES3_PS1_EvbiT1_T2_llS6_lllS5_T3_llli
    .private_segment_fixed_size: 0
    .sgpr_count:     37
    .sgpr_spill_count: 0
    .symbol:         _ZL19rocblas_hpmv_kernelILi64ELi16EPK19rocblas_complex_numIfES3_PS1_EvbiT1_T2_llS6_lllS5_T3_llli.kd
    .uniform_work_group_size: 1
    .uses_dynamic_stack: false
    .vgpr_count:     15
    .vgpr_spill_count: 0
    .wavefront_size: 32
    .workgroup_processor_mode: 1
  - .args:
      - .offset:         0
        .size:           1
        .value_kind:     by_value
      - .offset:         4
        .size:           4
        .value_kind:     by_value
      - .offset:         8
        .size:           8
        .value_kind:     by_value
      - .address_space:  global
        .offset:         16
        .size:           8
        .value_kind:     global_buffer
      - .offset:         24
        .size:           8
        .value_kind:     by_value
      - .offset:         32
        .size:           8
        .value_kind:     by_value
      - .address_space:  global
        .offset:         40
        .size:           8
        .value_kind:     global_buffer
      - .offset:         48
        .size:           8
        .value_kind:     by_value
      - .offset:         56
        .size:           8
        .value_kind:     by_value
      - .offset:         64
        .size:           8
        .value_kind:     by_value
      - .offset:         72
        .size:           8
        .value_kind:     by_value
      - .address_space:  global
        .offset:         80
        .size:           8
        .value_kind:     global_buffer
      - .offset:         88
        .size:           8
        .value_kind:     by_value
      - .offset:         96
        .size:           8
        .value_kind:     by_value
      - .offset:         104
        .size:           8
        .value_kind:     by_value
      - .offset:         112
        .size:           4
        .value_kind:     by_value
    .group_segment_fixed_size: 8192
    .kernarg_segment_align: 8
    .kernarg_segment_size: 116
    .language:       OpenCL C
    .language_version:
      - 2
      - 0
    .max_flat_workgroup_size: 1024
    .name:           _ZL19rocblas_hpmv_kernelILi64ELi16E19rocblas_complex_numIfEPKS1_PS1_EvbiT1_T2_llS6_lllS5_T3_llli
    .private_segment_fixed_size: 0
    .sgpr_count:     32
    .sgpr_spill_count: 0
    .symbol:         _ZL19rocblas_hpmv_kernelILi64ELi16E19rocblas_complex_numIfEPKS1_PS1_EvbiT1_T2_llS6_lllS5_T3_llli.kd
    .uniform_work_group_size: 1
    .uses_dynamic_stack: false
    .vgpr_count:     15
    .vgpr_spill_count: 0
    .wavefront_size: 32
    .workgroup_processor_mode: 1
  - .args:
      - .offset:         0
        .size:           1
        .value_kind:     by_value
      - .offset:         4
        .size:           4
        .value_kind:     by_value
      - .address_space:  global
        .offset:         8
        .size:           8
        .value_kind:     global_buffer
      - .address_space:  global
        .offset:         16
        .size:           8
        .value_kind:     global_buffer
      - .offset:         24
        .size:           8
        .value_kind:     by_value
      - .offset:         32
        .size:           8
        .value_kind:     by_value
      - .address_space:  global
        .offset:         40
        .size:           8
        .value_kind:     global_buffer
      - .offset:         48
        .size:           8
        .value_kind:     by_value
      - .offset:         56
        .size:           8
        .value_kind:     by_value
      - .offset:         64
        .size:           8
        .value_kind:     by_value
      - .address_space:  global
        .offset:         72
        .size:           8
        .value_kind:     global_buffer
      - .address_space:  global
        .offset:         80
        .size:           8
        .value_kind:     global_buffer
      - .offset:         88
        .size:           8
        .value_kind:     by_value
      - .offset:         96
        .size:           8
        .value_kind:     by_value
      - .offset:         104
        .size:           8
        .value_kind:     by_value
      - .offset:         112
        .size:           4
        .value_kind:     by_value
    .group_segment_fixed_size: 16384
    .kernarg_segment_align: 8
    .kernarg_segment_size: 116
    .language:       OpenCL C
    .language_version:
      - 2
      - 0
    .max_flat_workgroup_size: 1024
    .name:           _ZL19rocblas_hpmv_kernelILi64ELi16EPK19rocblas_complex_numIdES3_PS1_EvbiT1_T2_llS6_lllS5_T3_llli
    .private_segment_fixed_size: 0
    .sgpr_count:     46
    .sgpr_spill_count: 0
    .symbol:         _ZL19rocblas_hpmv_kernelILi64ELi16EPK19rocblas_complex_numIdES3_PS1_EvbiT1_T2_llS6_lllS5_T3_llli.kd
    .uniform_work_group_size: 1
    .uses_dynamic_stack: false
    .vgpr_count:     22
    .vgpr_spill_count: 0
    .wavefront_size: 32
    .workgroup_processor_mode: 1
  - .args:
      - .offset:         0
        .size:           1
        .value_kind:     by_value
      - .offset:         4
        .size:           4
        .value_kind:     by_value
      - .offset:         8
        .size:           16
        .value_kind:     by_value
      - .address_space:  global
        .offset:         24
        .size:           8
        .value_kind:     global_buffer
      - .offset:         32
        .size:           8
        .value_kind:     by_value
      - .offset:         40
        .size:           8
        .value_kind:     by_value
      - .address_space:  global
        .offset:         48
        .size:           8
        .value_kind:     global_buffer
      - .offset:         56
        .size:           8
        .value_kind:     by_value
      - .offset:         64
        .size:           8
        .value_kind:     by_value
      - .offset:         72
        .size:           8
        .value_kind:     by_value
      - .offset:         80
        .size:           16
        .value_kind:     by_value
      - .address_space:  global
        .offset:         96
        .size:           8
        .value_kind:     global_buffer
      - .offset:         104
        .size:           8
        .value_kind:     by_value
      - .offset:         112
        .size:           8
        .value_kind:     by_value
      - .offset:         120
        .size:           8
        .value_kind:     by_value
      - .offset:         128
        .size:           4
        .value_kind:     by_value
    .group_segment_fixed_size: 16384
    .kernarg_segment_align: 8
    .kernarg_segment_size: 132
    .language:       OpenCL C
    .language_version:
      - 2
      - 0
    .max_flat_workgroup_size: 1024
    .name:           _ZL19rocblas_hpmv_kernelILi64ELi16E19rocblas_complex_numIdEPKS1_PS1_EvbiT1_T2_llS6_lllS5_T3_llli
    .private_segment_fixed_size: 0
    .sgpr_count:     42
    .sgpr_spill_count: 0
    .symbol:         _ZL19rocblas_hpmv_kernelILi64ELi16E19rocblas_complex_numIdEPKS1_PS1_EvbiT1_T2_llS6_lllS5_T3_llli.kd
    .uniform_work_group_size: 1
    .uses_dynamic_stack: false
    .vgpr_count:     22
    .vgpr_spill_count: 0
    .wavefront_size: 32
    .workgroup_processor_mode: 1
  - .args:
      - .offset:         0
        .size:           1
        .value_kind:     by_value
      - .offset:         4
        .size:           4
        .value_kind:     by_value
      - .address_space:  global
        .offset:         8
        .size:           8
        .value_kind:     global_buffer
      - .address_space:  global
        .offset:         16
        .size:           8
        .value_kind:     global_buffer
      - .offset:         24
        .size:           8
        .value_kind:     by_value
      - .offset:         32
        .size:           8
        .value_kind:     by_value
      - .address_space:  global
        .offset:         40
        .size:           8
        .value_kind:     global_buffer
      - .offset:         48
        .size:           8
        .value_kind:     by_value
      - .offset:         56
        .size:           8
        .value_kind:     by_value
      - .offset:         64
        .size:           8
        .value_kind:     by_value
      - .address_space:  global
        .offset:         72
        .size:           8
        .value_kind:     global_buffer
      - .address_space:  global
        .offset:         80
        .size:           8
        .value_kind:     global_buffer
      - .offset:         88
        .size:           8
        .value_kind:     by_value
      - .offset:         96
        .size:           8
        .value_kind:     by_value
      - .offset:         104
        .size:           8
        .value_kind:     by_value
      - .offset:         112
        .size:           4
        .value_kind:     by_value
    .group_segment_fixed_size: 8192
    .kernarg_segment_align: 8
    .kernarg_segment_size: 116
    .language:       OpenCL C
    .language_version:
      - 2
      - 0
    .max_flat_workgroup_size: 1024
    .name:           _ZL19rocblas_hpmv_kernelILi64ELi16EPK19rocblas_complex_numIfEPKS3_PKPS1_EvbiT1_T2_llSA_lllS9_T3_llli
    .private_segment_fixed_size: 0
    .sgpr_count:     29
    .sgpr_spill_count: 0
    .symbol:         _ZL19rocblas_hpmv_kernelILi64ELi16EPK19rocblas_complex_numIfEPKS3_PKPS1_EvbiT1_T2_llSA_lllS9_T3_llli.kd
    .uniform_work_group_size: 1
    .uses_dynamic_stack: false
    .vgpr_count:     15
    .vgpr_spill_count: 0
    .wavefront_size: 32
    .workgroup_processor_mode: 1
  - .args:
      - .offset:         0
        .size:           1
        .value_kind:     by_value
      - .offset:         4
        .size:           4
        .value_kind:     by_value
      - .offset:         8
        .size:           8
        .value_kind:     by_value
      - .address_space:  global
        .offset:         16
        .size:           8
        .value_kind:     global_buffer
      - .offset:         24
        .size:           8
        .value_kind:     by_value
      - .offset:         32
        .size:           8
        .value_kind:     by_value
      - .address_space:  global
        .offset:         40
        .size:           8
        .value_kind:     global_buffer
      - .offset:         48
        .size:           8
        .value_kind:     by_value
      - .offset:         56
        .size:           8
        .value_kind:     by_value
      - .offset:         64
        .size:           8
        .value_kind:     by_value
      - .offset:         72
        .size:           8
        .value_kind:     by_value
      - .address_space:  global
        .offset:         80
        .size:           8
        .value_kind:     global_buffer
      - .offset:         88
        .size:           8
        .value_kind:     by_value
      - .offset:         96
        .size:           8
        .value_kind:     by_value
      - .offset:         104
        .size:           8
        .value_kind:     by_value
      - .offset:         112
        .size:           4
        .value_kind:     by_value
    .group_segment_fixed_size: 8192
    .kernarg_segment_align: 8
    .kernarg_segment_size: 116
    .language:       OpenCL C
    .language_version:
      - 2
      - 0
    .max_flat_workgroup_size: 1024
    .name:           _ZL19rocblas_hpmv_kernelILi64ELi16E19rocblas_complex_numIfEPKPKS1_PKPS1_EvbiT1_T2_llSA_lllS9_T3_llli
    .private_segment_fixed_size: 0
    .sgpr_count:     30
    .sgpr_spill_count: 0
    .symbol:         _ZL19rocblas_hpmv_kernelILi64ELi16E19rocblas_complex_numIfEPKPKS1_PKPS1_EvbiT1_T2_llSA_lllS9_T3_llli.kd
    .uniform_work_group_size: 1
    .uses_dynamic_stack: false
    .vgpr_count:     15
    .vgpr_spill_count: 0
    .wavefront_size: 32
    .workgroup_processor_mode: 1
  - .args:
      - .offset:         0
        .size:           1
        .value_kind:     by_value
      - .offset:         4
        .size:           4
        .value_kind:     by_value
      - .address_space:  global
        .offset:         8
        .size:           8
        .value_kind:     global_buffer
      - .address_space:  global
        .offset:         16
        .size:           8
        .value_kind:     global_buffer
      - .offset:         24
        .size:           8
        .value_kind:     by_value
      - .offset:         32
        .size:           8
        .value_kind:     by_value
      - .address_space:  global
        .offset:         40
        .size:           8
        .value_kind:     global_buffer
      - .offset:         48
        .size:           8
        .value_kind:     by_value
      - .offset:         56
        .size:           8
        .value_kind:     by_value
      - .offset:         64
        .size:           8
        .value_kind:     by_value
      - .address_space:  global
        .offset:         72
        .size:           8
        .value_kind:     global_buffer
      - .address_space:  global
        .offset:         80
        .size:           8
        .value_kind:     global_buffer
      - .offset:         88
        .size:           8
        .value_kind:     by_value
      - .offset:         96
        .size:           8
        .value_kind:     by_value
      - .offset:         104
        .size:           8
        .value_kind:     by_value
      - .offset:         112
        .size:           4
        .value_kind:     by_value
    .group_segment_fixed_size: 16384
    .kernarg_segment_align: 8
    .kernarg_segment_size: 116
    .language:       OpenCL C
    .language_version:
      - 2
      - 0
    .max_flat_workgroup_size: 1024
    .name:           _ZL19rocblas_hpmv_kernelILi64ELi16EPK19rocblas_complex_numIdEPKS3_PKPS1_EvbiT1_T2_llSA_lllS9_T3_llli
    .private_segment_fixed_size: 0
    .sgpr_count:     34
    .sgpr_spill_count: 0
    .symbol:         _ZL19rocblas_hpmv_kernelILi64ELi16EPK19rocblas_complex_numIdEPKS3_PKPS1_EvbiT1_T2_llSA_lllS9_T3_llli.kd
    .uniform_work_group_size: 1
    .uses_dynamic_stack: false
    .vgpr_count:     22
    .vgpr_spill_count: 0
    .wavefront_size: 32
    .workgroup_processor_mode: 1
  - .args:
      - .offset:         0
        .size:           1
        .value_kind:     by_value
      - .offset:         4
        .size:           4
        .value_kind:     by_value
      - .offset:         8
        .size:           16
        .value_kind:     by_value
      - .address_space:  global
        .offset:         24
        .size:           8
        .value_kind:     global_buffer
      - .offset:         32
        .size:           8
        .value_kind:     by_value
      - .offset:         40
        .size:           8
        .value_kind:     by_value
      - .address_space:  global
        .offset:         48
        .size:           8
        .value_kind:     global_buffer
      - .offset:         56
        .size:           8
        .value_kind:     by_value
      - .offset:         64
        .size:           8
        .value_kind:     by_value
      - .offset:         72
        .size:           8
        .value_kind:     by_value
      - .offset:         80
        .size:           16
        .value_kind:     by_value
      - .address_space:  global
        .offset:         96
        .size:           8
        .value_kind:     global_buffer
      - .offset:         104
        .size:           8
        .value_kind:     by_value
      - .offset:         112
        .size:           8
        .value_kind:     by_value
      - .offset:         120
        .size:           8
        .value_kind:     by_value
      - .offset:         128
        .size:           4
        .value_kind:     by_value
    .group_segment_fixed_size: 16384
    .kernarg_segment_align: 8
    .kernarg_segment_size: 132
    .language:       OpenCL C
    .language_version:
      - 2
      - 0
    .max_flat_workgroup_size: 1024
    .name:           _ZL19rocblas_hpmv_kernelILi64ELi16E19rocblas_complex_numIdEPKPKS1_PKPS1_EvbiT1_T2_llSA_lllS9_T3_llli
    .private_segment_fixed_size: 0
    .sgpr_count:     32
    .sgpr_spill_count: 0
    .symbol:         _ZL19rocblas_hpmv_kernelILi64ELi16E19rocblas_complex_numIdEPKPKS1_PKPS1_EvbiT1_T2_llSA_lllS9_T3_llli.kd
    .uniform_work_group_size: 1
    .uses_dynamic_stack: false
    .vgpr_count:     22
    .vgpr_spill_count: 0
    .wavefront_size: 32
    .workgroup_processor_mode: 1
amdhsa.target:   amdgcn-amd-amdhsa--gfx1100
amdhsa.version:
  - 1
  - 2
...

	.end_amdgpu_metadata
